;; amdgpu-corpus repo=ROCm/vllm kind=compiled arch=gfx90a opt=O3
	.text
	.amdgcn_target "amdgcn-amd-amdhsa--gfx90a"
	.amdhsa_code_object_version 6
	.section	.text._ZN4vllm18act_and_mul_kernelIfTnPFT_RKS1_EXadL_ZNS_11silu_kernelIfEES1_S3_EELb1EEEvPS1_PS2_i,"axG",@progbits,_ZN4vllm18act_and_mul_kernelIfTnPFT_RKS1_EXadL_ZNS_11silu_kernelIfEES1_S3_EELb1EEEvPS1_PS2_i,comdat
	.protected	_ZN4vllm18act_and_mul_kernelIfTnPFT_RKS1_EXadL_ZNS_11silu_kernelIfEES1_S3_EELb1EEEvPS1_PS2_i ; -- Begin function _ZN4vllm18act_and_mul_kernelIfTnPFT_RKS1_EXadL_ZNS_11silu_kernelIfEES1_S3_EELb1EEEvPS1_PS2_i
	.globl	_ZN4vllm18act_and_mul_kernelIfTnPFT_RKS1_EXadL_ZNS_11silu_kernelIfEES1_S3_EELb1EEEvPS1_PS2_i
	.p2align	8
	.type	_ZN4vllm18act_and_mul_kernelIfTnPFT_RKS1_EXadL_ZNS_11silu_kernelIfEES1_S3_EELb1EEEvPS1_PS2_i,@function
_ZN4vllm18act_and_mul_kernelIfTnPFT_RKS1_EXadL_ZNS_11silu_kernelIfEES1_S3_EELb1EEEvPS1_PS2_i: ; @_ZN4vllm18act_and_mul_kernelIfTnPFT_RKS1_EXadL_ZNS_11silu_kernelIfEES1_S3_EELb1EEEvPS1_PS2_i
; %bb.0:
	s_load_dword s2, s[4:5], 0x10
	s_waitcnt lgkmcnt(0)
	v_cmp_gt_i32_e32 vcc, s2, v0
	s_and_saveexec_b64 s[0:1], vcc
	s_cbranch_execz .LBB0_12
; %bb.1:
	s_load_dword s0, s[4:5], 0x24
	s_load_dwordx4 s[8:11], s[4:5], 0x0
	s_ashr_i32 s3, s2, 31
	v_mov_b32_e32 v2, s3
	v_mov_b32_e32 v1, 0
	s_waitcnt lgkmcnt(0)
	s_and_b32 s12, s0, 0xffff
	v_add_co_u32_e32 v4, vcc, s12, v0
	v_addc_co_u32_e64 v5, s[0:1], 0, 0, vcc
	v_cmp_lt_i64_e32 vcc, s[2:3], v[4:5]
	v_cndmask_b32_e32 v6, v2, v5, vcc
	v_mov_b32_e32 v2, s2
	v_cndmask_b32_e32 v3, v2, v4, vcc
	v_cmp_gt_i64_e32 vcc, s[2:3], v[4:5]
	v_cndmask_b32_e64 v2, 0, 1, vcc
	v_add_co_u32_e32 v4, vcc, v4, v2
	v_addc_co_u32_e32 v5, vcc, 0, v5, vcc
	v_sub_co_u32_e32 v3, vcc, v3, v4
	v_subb_co_u32_e32 v5, vcc, v6, v5, vcc
	v_mov_b32_e32 v4, v1
	s_mov_b32 s13, 0
	v_cmp_ne_u64_e32 vcc, 0, v[4:5]
                                        ; implicit-def: $vgpr6_vgpr7
	s_and_saveexec_b64 s[0:1], vcc
	s_xor_b64 s[4:5], exec, s[0:1]
	s_cbranch_execz .LBB0_3
; %bb.2:
	v_cvt_f32_u32_e32 v4, s12
	v_mov_b32_e32 v6, 0x4f800000
	s_sub_u32 s0, 0, s12
	s_subb_u32 s1, 0, 0
	v_mac_f32_e32 v4, 0, v6
	v_rcp_f32_e32 v4, v4
	v_mul_f32_e32 v4, 0x5f7ffffc, v4
	v_mul_f32_e32 v6, 0x2f800000, v4
	v_trunc_f32_e32 v6, v6
	v_madmk_f32 v4, v6, 0xcf800000, v4
	v_cvt_u32_f32_e32 v6, v6
	v_cvt_u32_f32_e32 v4, v4
	v_mul_lo_u32 v7, s0, v6
	v_mul_hi_u32 v9, s0, v4
	v_mul_lo_u32 v8, s1, v4
	v_add_u32_e32 v7, v9, v7
	v_mul_lo_u32 v10, s0, v4
	v_add_u32_e32 v7, v7, v8
	v_mul_hi_u32 v9, v4, v10
	v_mul_lo_u32 v11, v4, v7
	v_mul_hi_u32 v8, v4, v7
	v_add_co_u32_e32 v9, vcc, v9, v11
	v_addc_co_u32_e32 v8, vcc, 0, v8, vcc
	v_mul_hi_u32 v12, v6, v10
	v_mul_lo_u32 v10, v6, v10
	v_add_co_u32_e32 v9, vcc, v9, v10
	v_mul_hi_u32 v11, v6, v7
	v_addc_co_u32_e32 v8, vcc, v8, v12, vcc
	v_addc_co_u32_e32 v9, vcc, 0, v11, vcc
	v_mul_lo_u32 v7, v6, v7
	v_add_co_u32_e32 v7, vcc, v8, v7
	v_addc_co_u32_e32 v8, vcc, 0, v9, vcc
	v_add_co_u32_e32 v4, vcc, v4, v7
	v_addc_co_u32_e32 v6, vcc, v6, v8, vcc
	v_mul_lo_u32 v7, s0, v6
	v_mul_hi_u32 v8, s0, v4
	v_add_u32_e32 v7, v8, v7
	v_mul_lo_u32 v8, s1, v4
	v_add_u32_e32 v7, v7, v8
	v_mul_lo_u32 v9, s0, v4
	v_mul_hi_u32 v10, v6, v9
	v_mul_lo_u32 v11, v6, v9
	v_mul_lo_u32 v13, v4, v7
	v_mul_hi_u32 v9, v4, v9
	v_mul_hi_u32 v12, v4, v7
	v_add_co_u32_e32 v9, vcc, v9, v13
	v_addc_co_u32_e32 v12, vcc, 0, v12, vcc
	v_add_co_u32_e32 v9, vcc, v9, v11
	v_mul_hi_u32 v8, v6, v7
	v_addc_co_u32_e32 v9, vcc, v12, v10, vcc
	v_addc_co_u32_e32 v8, vcc, 0, v8, vcc
	v_mul_lo_u32 v7, v6, v7
	v_add_co_u32_e32 v7, vcc, v9, v7
	v_addc_co_u32_e32 v8, vcc, 0, v8, vcc
	v_add_co_u32_e32 v4, vcc, v4, v7
	v_addc_co_u32_e32 v8, vcc, v6, v8, vcc
	v_mad_u64_u32 v[6:7], s[0:1], v3, v8, 0
	v_mul_hi_u32 v9, v3, v4
	v_add_co_u32_e32 v10, vcc, v9, v6
	v_addc_co_u32_e32 v11, vcc, 0, v7, vcc
	v_mad_u64_u32 v[6:7], s[0:1], v5, v8, 0
	v_mad_u64_u32 v[8:9], s[0:1], v5, v4, 0
	v_add_co_u32_e32 v4, vcc, v10, v8
	v_addc_co_u32_e32 v4, vcc, v11, v9, vcc
	v_addc_co_u32_e32 v7, vcc, 0, v7, vcc
	v_add_co_u32_e32 v10, vcc, v4, v6
	v_addc_co_u32_e32 v11, vcc, 0, v7, vcc
	v_mad_u64_u32 v[6:7], s[0:1], s12, v10, 0
	v_mov_b32_e32 v4, v7
	v_mad_u64_u32 v[8:9], s[0:1], s12, v11, v[4:5]
	v_sub_co_u32_e32 v3, vcc, v3, v6
	v_subb_co_u32_e32 v4, vcc, v5, v8, vcc
	v_subrev_co_u32_e32 v5, vcc, s12, v3
	v_subbrev_co_u32_e32 v6, vcc, 0, v4, vcc
	v_cmp_le_u32_e32 vcc, s12, v5
	v_cndmask_b32_e64 v5, 0, -1, vcc
	v_cmp_eq_u32_e32 vcc, 0, v6
	v_cndmask_b32_e32 v5, -1, v5, vcc
	v_add_co_u32_e32 v6, vcc, 2, v10
	v_addc_co_u32_e32 v7, vcc, 0, v11, vcc
	v_add_co_u32_e32 v8, vcc, 1, v10
	v_cmp_le_u32_e64 s[0:1], s12, v3
	v_addc_co_u32_e32 v9, vcc, 0, v11, vcc
	v_cndmask_b32_e64 v3, 0, -1, s[0:1]
	v_cmp_eq_u32_e64 s[0:1], 0, v4
	v_cmp_ne_u32_e32 vcc, 0, v5
	v_cndmask_b32_e64 v3, -1, v3, s[0:1]
	v_cndmask_b32_e32 v5, v9, v7, vcc
	v_cmp_ne_u32_e64 s[0:1], 0, v3
	v_cndmask_b32_e32 v3, v8, v6, vcc
	v_cndmask_b32_e64 v7, v11, v5, s[0:1]
	v_cndmask_b32_e64 v6, v10, v3, s[0:1]
                                        ; implicit-def: $vgpr3
.LBB0_3:
	s_andn2_saveexec_b64 s[0:1], s[4:5]
	s_cbranch_execz .LBB0_5
; %bb.4:
	v_cvt_f32_u32_e32 v4, s12
	s_sub_i32 s4, 0, s12
	v_mov_b32_e32 v7, 0
	v_rcp_iflag_f32_e32 v4, v4
	v_mul_f32_e32 v4, 0x4f7ffffe, v4
	v_cvt_u32_f32_e32 v4, v4
	v_mul_lo_u32 v5, s4, v4
	v_mul_hi_u32 v5, v4, v5
	v_add_u32_e32 v4, v4, v5
	v_mul_hi_u32 v4, v3, v4
	v_mul_lo_u32 v5, v4, s12
	v_sub_u32_e32 v3, v3, v5
	v_add_u32_e32 v6, 1, v4
	v_subrev_u32_e32 v5, s12, v3
	v_cmp_le_u32_e32 vcc, s12, v3
	v_cndmask_b32_e32 v3, v3, v5, vcc
	v_cndmask_b32_e32 v4, v4, v6, vcc
	v_add_u32_e32 v5, 1, v4
	v_cmp_le_u32_e32 vcc, s12, v3
	v_cndmask_b32_e32 v6, v4, v5, vcc
.LBB0_5:
	s_or_b64 exec, exec, s[0:1]
	s_mul_i32 s0, s6, s3
	s_mul_hi_u32 s1, s6, s2
	s_add_i32 s1, s1, s0
	s_mul_i32 s0, s6, s2
	s_lshl_b64 s[4:5], s[0:1], 3
	s_add_u32 s10, s10, s4
	s_addc_u32 s14, s11, s5
	s_lshl_b64 s[4:5], s[2:3], 2
	v_add_co_u32_e32 v2, vcc, v6, v2
	s_add_u32 s11, s10, s4
	v_addc_co_u32_e32 v3, vcc, 0, v7, vcc
	s_addc_u32 s15, s14, s5
	s_lshl_b64 s[0:1], s[0:1], 2
	v_add_co_u32_e32 v2, vcc, 1, v2
	s_add_u32 s8, s8, s0
	v_addc_co_u32_e32 v3, vcc, 0, v3, vcc
	s_addc_u32 s9, s9, s1
	v_cmp_lt_u64_e32 vcc, 1, v[2:3]
	v_cmp_eq_u16_e64 s[0:1], s12, 1
	s_and_b64 s[6:7], vcc, s[0:1]
	s_mov_b64 s[0:1], -1
	s_and_saveexec_b64 s[4:5], s[6:7]
	s_cbranch_execz .LBB0_9
; %bb.6:
	v_and_b32_e32 v4, -2, v2
	v_mov_b32_e32 v5, v3
	s_mov_b32 s0, 0
	v_lshlrev_b32_e32 v6, 2, v0
	v_mov_b32_e32 v7, 0
	s_lshl_b32 s16, s12, 3
	s_mov_b64 s[6:7], 0
	v_mov_b32_e32 v14, s14
	v_mov_b32_e32 v15, s15
	s_mov_b32 s17, 0xbfb8aa3b
	s_mov_b32 s18, 0x42ce8ed0
	;; [unrolled: 1-line block ×3, first 2 shown]
	v_mov_b32_e32 v16, 0x7f800000
	v_mov_b32_e32 v17, s9
	v_mov_b32_e32 v18, s0
	v_pk_mov_b32 v[8:9], v[4:5], v[4:5] op_sel:[0,1]
.LBB0_7:                                ; =>This Inner Loop Header: Depth=1
	v_add_co_u32_e32 v10, vcc, s10, v6
	v_addc_co_u32_e32 v11, vcc, v14, v7, vcc
	global_load_dwordx2 v[10:11], v[10:11], off
	v_add_co_u32_e32 v12, vcc, s11, v6
	v_addc_co_u32_e32 v13, vcc, v15, v7, vcc
	global_load_dwordx2 v[12:13], v[12:13], off
	v_add_co_u32_e32 v20, vcc, s8, v6
	v_addc_co_u32_e32 v21, vcc, v17, v7, vcc
	v_add_co_u32_e32 v8, vcc, -2, v8
	v_addc_co_u32_e32 v9, vcc, -1, v9, vcc
	v_add_co_u32_e32 v6, vcc, s16, v6
	v_addc_co_u32_e32 v7, vcc, v7, v18, vcc
	v_cmp_eq_u64_e32 vcc, 0, v[8:9]
	s_or_b64 s[6:7], vcc, s[6:7]
	s_waitcnt vmcnt(1)
	v_mul_f32_e32 v19, 0xbfb8aa3b, v11
	v_mul_f32_e32 v22, 0xbfb8aa3b, v10
	v_fma_f32 v23, v11, s17, -v19
	v_rndne_f32_e32 v24, v19
	v_fma_f32 v25, v10, s17, -v22
	v_rndne_f32_e32 v26, v22
	v_fmac_f32_e32 v23, 0xb2a5705f, v11
	v_sub_f32_e32 v19, v19, v24
	v_fmac_f32_e32 v25, 0xb2a5705f, v10
	v_sub_f32_e32 v22, v22, v26
	v_add_f32_e32 v19, v19, v23
	v_add_f32_e32 v22, v22, v25
	v_cvt_i32_f32_e32 v24, v24
	v_cvt_i32_f32_e32 v26, v26
	v_exp_f32_e32 v19, v19
	v_exp_f32_e32 v22, v22
	v_cmp_nlt_f32_e32 vcc, s18, v10
	v_cmp_nlt_f32_e64 s[0:1], s18, v11
	v_ldexp_f32 v19, v19, v24
	v_ldexp_f32 v22, v22, v26
	v_cndmask_b32_e64 v19, 0, v19, s[0:1]
	v_cndmask_b32_e32 v22, 0, v22, vcc
	v_cmp_ngt_f32_e32 vcc, s19, v10
	v_cmp_ngt_f32_e64 s[0:1], s19, v11
	v_cndmask_b32_e64 v23, v16, v19, s[0:1]
	v_cndmask_b32_e32 v22, v16, v22, vcc
	v_pk_add_f32 v[22:23], v[22:23], 1.0 op_sel_hi:[1,0]
	v_div_scale_f32 v19, s[0:1], v23, v23, v11
	v_div_scale_f32 v25, s[0:1], v22, v22, v10
	v_rcp_f32_e32 v27, v19
	v_rcp_f32_e32 v28, v25
	v_div_scale_f32 v24, vcc, v11, v23, v11
	v_fma_f32 v29, -v19, v27, 1.0
	v_fma_f32 v30, -v25, v28, 1.0
	v_fmac_f32_e32 v27, v29, v27
	v_div_scale_f32 v26, s[0:1], v10, v22, v10
	v_fmac_f32_e32 v28, v30, v28
	v_mul_f32_e32 v29, v24, v27
	v_mul_f32_e32 v30, v26, v28
	v_fma_f32 v31, -v19, v29, v24
	v_fma_f32 v32, -v25, v30, v26
	v_fmac_f32_e32 v29, v31, v27
	v_fmac_f32_e32 v30, v32, v28
	v_fma_f32 v19, -v19, v29, v24
	v_fma_f32 v24, -v25, v30, v26
	v_div_fmas_f32 v19, v19, v27, v29
	s_mov_b64 vcc, s[0:1]
	v_div_fixup_f32 v11, v19, v23, v11
	v_div_fmas_f32 v19, v24, v28, v30
	v_div_fixup_f32 v10, v19, v22, v10
	s_waitcnt vmcnt(0)
	v_pk_mul_f32 v[10:11], v[12:13], v[10:11]
	global_store_dwordx2 v[20:21], v[10:11], off
	s_andn2_b64 exec, exec, s[6:7]
	s_cbranch_execnz .LBB0_7
; %bb.8:
	s_or_b64 exec, exec, s[6:7]
	v_mad_u64_u32 v[0:1], s[0:1], v4, s12, v[0:1]
	v_mov_b32_e32 v6, v1
	v_mad_u64_u32 v[6:7], s[0:1], v5, s12, v[6:7]
	v_cmp_ne_u64_e32 vcc, v[2:3], v[4:5]
	v_mov_b32_e32 v1, v6
	s_orn2_b64 s[0:1], vcc, exec
.LBB0_9:
	s_or_b64 exec, exec, s[4:5]
	s_and_b64 exec, exec, s[0:1]
	s_cbranch_execz .LBB0_12
; %bb.10:
	s_mov_b32 s16, 0
	v_lshlrev_b64 v[2:3], 2, v[0:1]
	s_lshl_b32 s4, s12, 2
	s_mov_b64 s[0:1], 0
	v_mov_b32_e32 v4, s14
	v_mov_b32_e32 v5, s15
	s_mov_b32 s5, 0xbfb8aa3b
	s_mov_b32 s6, 0x42ce8ed0
	;; [unrolled: 1-line block ×3, first 2 shown]
	v_mov_b32_e32 v6, 0x7f800000
	v_mov_b32_e32 v7, s9
	;; [unrolled: 1-line block ×4, first 2 shown]
.LBB0_11:                               ; =>This Inner Loop Header: Depth=1
	v_add_co_u32_e32 v10, vcc, s10, v2
	v_addc_co_u32_e32 v11, vcc, v4, v3, vcc
	global_load_dword v12, v[10:11], off
	v_add_co_u32_e32 v10, vcc, s11, v2
	v_addc_co_u32_e32 v11, vcc, v5, v3, vcc
	global_load_dword v13, v[10:11], off
	v_add_co_u32_e32 v10, vcc, s8, v2
	v_addc_co_u32_e32 v11, vcc, v7, v3, vcc
	v_add_co_u32_e32 v0, vcc, s12, v0
	v_addc_co_u32_e32 v1, vcc, v1, v8, vcc
	;; [unrolled: 2-line block ×3, first 2 shown]
	v_cmp_le_i64_e32 vcc, s[2:3], v[0:1]
	s_or_b64 s[0:1], vcc, s[0:1]
	s_waitcnt vmcnt(1)
	v_mul_f32_e32 v14, 0xbfb8aa3b, v12
	v_fma_f32 v15, v12, s5, -v14
	v_rndne_f32_e32 v16, v14
	v_fmac_f32_e32 v15, 0xb2a5705f, v12
	v_sub_f32_e32 v14, v14, v16
	v_add_f32_e32 v14, v14, v15
	v_cvt_i32_f32_e32 v16, v16
	v_exp_f32_e32 v14, v14
	v_cmp_nlt_f32_e32 vcc, s6, v12
	v_ldexp_f32 v14, v14, v16
	v_cndmask_b32_e32 v14, 0, v14, vcc
	v_cmp_ngt_f32_e32 vcc, s7, v12
	v_cndmask_b32_e32 v14, v6, v14, vcc
	v_add_f32_e32 v14, 1.0, v14
	v_div_scale_f32 v15, s[14:15], v14, v14, v12
	v_rcp_f32_e32 v16, v15
	v_div_scale_f32 v17, vcc, v12, v14, v12
	v_fma_f32 v18, -v15, v16, 1.0
	v_fmac_f32_e32 v16, v18, v16
	v_mul_f32_e32 v18, v17, v16
	v_fma_f32 v19, -v15, v18, v17
	v_fmac_f32_e32 v18, v19, v16
	v_fma_f32 v15, -v15, v18, v17
	v_div_fmas_f32 v15, v15, v16, v18
	v_div_fixup_f32 v12, v15, v14, v12
	s_waitcnt vmcnt(0)
	v_mul_f32_e32 v12, v13, v12
	global_store_dword v[10:11], v12, off
	s_andn2_b64 exec, exec, s[0:1]
	s_cbranch_execnz .LBB0_11
.LBB0_12:
	s_endpgm
	.section	.rodata,"a",@progbits
	.p2align	6, 0x0
	.amdhsa_kernel _ZN4vllm18act_and_mul_kernelIfTnPFT_RKS1_EXadL_ZNS_11silu_kernelIfEES1_S3_EELb1EEEvPS1_PS2_i
		.amdhsa_group_segment_fixed_size 0
		.amdhsa_private_segment_fixed_size 0
		.amdhsa_kernarg_size 280
		.amdhsa_user_sgpr_count 6
		.amdhsa_user_sgpr_private_segment_buffer 1
		.amdhsa_user_sgpr_dispatch_ptr 0
		.amdhsa_user_sgpr_queue_ptr 0
		.amdhsa_user_sgpr_kernarg_segment_ptr 1
		.amdhsa_user_sgpr_dispatch_id 0
		.amdhsa_user_sgpr_flat_scratch_init 0
		.amdhsa_user_sgpr_kernarg_preload_length 0
		.amdhsa_user_sgpr_kernarg_preload_offset 0
		.amdhsa_user_sgpr_private_segment_size 0
		.amdhsa_uses_dynamic_stack 0
		.amdhsa_system_sgpr_private_segment_wavefront_offset 0
		.amdhsa_system_sgpr_workgroup_id_x 1
		.amdhsa_system_sgpr_workgroup_id_y 0
		.amdhsa_system_sgpr_workgroup_id_z 0
		.amdhsa_system_sgpr_workgroup_info 0
		.amdhsa_system_vgpr_workitem_id 0
		.amdhsa_next_free_vgpr 33
		.amdhsa_next_free_sgpr 20
		.amdhsa_accum_offset 36
		.amdhsa_reserve_vcc 1
		.amdhsa_reserve_flat_scratch 0
		.amdhsa_float_round_mode_32 0
		.amdhsa_float_round_mode_16_64 0
		.amdhsa_float_denorm_mode_32 3
		.amdhsa_float_denorm_mode_16_64 3
		.amdhsa_dx10_clamp 1
		.amdhsa_ieee_mode 1
		.amdhsa_fp16_overflow 0
		.amdhsa_tg_split 0
		.amdhsa_exception_fp_ieee_invalid_op 0
		.amdhsa_exception_fp_denorm_src 0
		.amdhsa_exception_fp_ieee_div_zero 0
		.amdhsa_exception_fp_ieee_overflow 0
		.amdhsa_exception_fp_ieee_underflow 0
		.amdhsa_exception_fp_ieee_inexact 0
		.amdhsa_exception_int_div_zero 0
	.end_amdhsa_kernel
	.section	.text._ZN4vllm18act_and_mul_kernelIfTnPFT_RKS1_EXadL_ZNS_11silu_kernelIfEES1_S3_EELb1EEEvPS1_PS2_i,"axG",@progbits,_ZN4vllm18act_and_mul_kernelIfTnPFT_RKS1_EXadL_ZNS_11silu_kernelIfEES1_S3_EELb1EEEvPS1_PS2_i,comdat
.Lfunc_end0:
	.size	_ZN4vllm18act_and_mul_kernelIfTnPFT_RKS1_EXadL_ZNS_11silu_kernelIfEES1_S3_EELb1EEEvPS1_PS2_i, .Lfunc_end0-_ZN4vllm18act_and_mul_kernelIfTnPFT_RKS1_EXadL_ZNS_11silu_kernelIfEES1_S3_EELb1EEEvPS1_PS2_i
                                        ; -- End function
	.section	.AMDGPU.csdata,"",@progbits
; Kernel info:
; codeLenInByte = 1732
; NumSgprs: 24
; NumVgprs: 33
; NumAgprs: 0
; TotalNumVgprs: 33
; ScratchSize: 0
; MemoryBound: 0
; FloatMode: 240
; IeeeMode: 1
; LDSByteSize: 0 bytes/workgroup (compile time only)
; SGPRBlocks: 2
; VGPRBlocks: 4
; NumSGPRsForWavesPerEU: 24
; NumVGPRsForWavesPerEU: 33
; AccumOffset: 36
; Occupancy: 8
; WaveLimiterHint : 0
; COMPUTE_PGM_RSRC2:SCRATCH_EN: 0
; COMPUTE_PGM_RSRC2:USER_SGPR: 6
; COMPUTE_PGM_RSRC2:TRAP_HANDLER: 0
; COMPUTE_PGM_RSRC2:TGID_X_EN: 1
; COMPUTE_PGM_RSRC2:TGID_Y_EN: 0
; COMPUTE_PGM_RSRC2:TGID_Z_EN: 0
; COMPUTE_PGM_RSRC2:TIDIG_COMP_CNT: 0
; COMPUTE_PGM_RSRC3_GFX90A:ACCUM_OFFSET: 8
; COMPUTE_PGM_RSRC3_GFX90A:TG_SPLIT: 0
	.section	.text._ZN4vllm18act_and_mul_kernelIN3c104HalfETnPFT_RKS3_EXadL_ZNS_11silu_kernelIS2_EES3_S5_EELb1EEEvPS3_PS4_i,"axG",@progbits,_ZN4vllm18act_and_mul_kernelIN3c104HalfETnPFT_RKS3_EXadL_ZNS_11silu_kernelIS2_EES3_S5_EELb1EEEvPS3_PS4_i,comdat
	.protected	_ZN4vllm18act_and_mul_kernelIN3c104HalfETnPFT_RKS3_EXadL_ZNS_11silu_kernelIS2_EES3_S5_EELb1EEEvPS3_PS4_i ; -- Begin function _ZN4vllm18act_and_mul_kernelIN3c104HalfETnPFT_RKS3_EXadL_ZNS_11silu_kernelIS2_EES3_S5_EELb1EEEvPS3_PS4_i
	.globl	_ZN4vllm18act_and_mul_kernelIN3c104HalfETnPFT_RKS3_EXadL_ZNS_11silu_kernelIS2_EES3_S5_EELb1EEEvPS3_PS4_i
	.p2align	8
	.type	_ZN4vllm18act_and_mul_kernelIN3c104HalfETnPFT_RKS3_EXadL_ZNS_11silu_kernelIS2_EES3_S5_EELb1EEEvPS3_PS4_i,@function
_ZN4vllm18act_and_mul_kernelIN3c104HalfETnPFT_RKS3_EXadL_ZNS_11silu_kernelIS2_EES3_S5_EELb1EEEvPS3_PS4_i: ; @_ZN4vllm18act_and_mul_kernelIN3c104HalfETnPFT_RKS3_EXadL_ZNS_11silu_kernelIS2_EES3_S5_EELb1EEEvPS3_PS4_i
; %bb.0:
	s_load_dword s12, s[4:5], 0x10
	s_waitcnt lgkmcnt(0)
	v_cmp_gt_i32_e32 vcc, s12, v0
	s_and_saveexec_b64 s[0:1], vcc
	s_cbranch_execz .LBB1_12
; %bb.1:
	s_load_dword s0, s[4:5], 0x24
	s_load_dwordx4 s[8:11], s[4:5], 0x0
	s_ashr_i32 s13, s12, 31
	v_mov_b32_e32 v2, s13
	v_mov_b32_e32 v1, 0
	s_waitcnt lgkmcnt(0)
	s_and_b32 s14, s0, 0xffff
	v_add_co_u32_e32 v4, vcc, s14, v0
	v_addc_co_u32_e64 v5, s[0:1], 0, 0, vcc
	v_cmp_lt_i64_e32 vcc, s[12:13], v[4:5]
	v_cndmask_b32_e32 v6, v2, v5, vcc
	v_mov_b32_e32 v2, s12
	v_cndmask_b32_e32 v3, v2, v4, vcc
	v_cmp_gt_i64_e32 vcc, s[12:13], v[4:5]
	v_cndmask_b32_e64 v2, 0, 1, vcc
	v_add_co_u32_e32 v4, vcc, v4, v2
	v_addc_co_u32_e32 v5, vcc, 0, v5, vcc
	v_sub_co_u32_e32 v3, vcc, v3, v4
	v_subb_co_u32_e32 v5, vcc, v6, v5, vcc
	v_mov_b32_e32 v4, v1
	s_mov_b32 s15, 0
	v_cmp_ne_u64_e32 vcc, 0, v[4:5]
                                        ; implicit-def: $vgpr6_vgpr7
	s_and_saveexec_b64 s[0:1], vcc
	s_xor_b64 s[2:3], exec, s[0:1]
	s_cbranch_execz .LBB1_3
; %bb.2:
	v_cvt_f32_u32_e32 v4, s14
	v_mov_b32_e32 v6, 0x4f800000
	s_sub_u32 s0, 0, s14
	s_subb_u32 s1, 0, 0
	v_mac_f32_e32 v4, 0, v6
	v_rcp_f32_e32 v4, v4
	v_mul_f32_e32 v4, 0x5f7ffffc, v4
	v_mul_f32_e32 v6, 0x2f800000, v4
	v_trunc_f32_e32 v6, v6
	v_madmk_f32 v4, v6, 0xcf800000, v4
	v_cvt_u32_f32_e32 v6, v6
	v_cvt_u32_f32_e32 v4, v4
	v_mul_lo_u32 v7, s0, v6
	v_mul_hi_u32 v9, s0, v4
	v_mul_lo_u32 v8, s1, v4
	v_add_u32_e32 v7, v9, v7
	v_mul_lo_u32 v10, s0, v4
	v_add_u32_e32 v7, v7, v8
	v_mul_hi_u32 v9, v4, v10
	v_mul_lo_u32 v11, v4, v7
	v_mul_hi_u32 v8, v4, v7
	v_add_co_u32_e32 v9, vcc, v9, v11
	v_addc_co_u32_e32 v8, vcc, 0, v8, vcc
	v_mul_hi_u32 v12, v6, v10
	v_mul_lo_u32 v10, v6, v10
	v_add_co_u32_e32 v9, vcc, v9, v10
	v_mul_hi_u32 v11, v6, v7
	v_addc_co_u32_e32 v8, vcc, v8, v12, vcc
	v_addc_co_u32_e32 v9, vcc, 0, v11, vcc
	v_mul_lo_u32 v7, v6, v7
	v_add_co_u32_e32 v7, vcc, v8, v7
	v_addc_co_u32_e32 v8, vcc, 0, v9, vcc
	v_add_co_u32_e32 v4, vcc, v4, v7
	v_addc_co_u32_e32 v6, vcc, v6, v8, vcc
	v_mul_lo_u32 v7, s0, v6
	v_mul_hi_u32 v8, s0, v4
	v_add_u32_e32 v7, v8, v7
	v_mul_lo_u32 v8, s1, v4
	v_add_u32_e32 v7, v7, v8
	v_mul_lo_u32 v9, s0, v4
	v_mul_hi_u32 v10, v6, v9
	v_mul_lo_u32 v11, v6, v9
	v_mul_lo_u32 v13, v4, v7
	v_mul_hi_u32 v9, v4, v9
	v_mul_hi_u32 v12, v4, v7
	v_add_co_u32_e32 v9, vcc, v9, v13
	v_addc_co_u32_e32 v12, vcc, 0, v12, vcc
	v_add_co_u32_e32 v9, vcc, v9, v11
	v_mul_hi_u32 v8, v6, v7
	v_addc_co_u32_e32 v9, vcc, v12, v10, vcc
	v_addc_co_u32_e32 v8, vcc, 0, v8, vcc
	v_mul_lo_u32 v7, v6, v7
	v_add_co_u32_e32 v7, vcc, v9, v7
	v_addc_co_u32_e32 v8, vcc, 0, v8, vcc
	v_add_co_u32_e32 v4, vcc, v4, v7
	v_addc_co_u32_e32 v8, vcc, v6, v8, vcc
	v_mad_u64_u32 v[6:7], s[0:1], v3, v8, 0
	v_mul_hi_u32 v9, v3, v4
	v_add_co_u32_e32 v10, vcc, v9, v6
	v_addc_co_u32_e32 v11, vcc, 0, v7, vcc
	v_mad_u64_u32 v[6:7], s[0:1], v5, v8, 0
	v_mad_u64_u32 v[8:9], s[0:1], v5, v4, 0
	v_add_co_u32_e32 v4, vcc, v10, v8
	v_addc_co_u32_e32 v4, vcc, v11, v9, vcc
	v_addc_co_u32_e32 v7, vcc, 0, v7, vcc
	v_add_co_u32_e32 v10, vcc, v4, v6
	v_addc_co_u32_e32 v11, vcc, 0, v7, vcc
	v_mad_u64_u32 v[6:7], s[0:1], s14, v10, 0
	v_mov_b32_e32 v4, v7
	v_mad_u64_u32 v[8:9], s[0:1], s14, v11, v[4:5]
	v_sub_co_u32_e32 v3, vcc, v3, v6
	v_subb_co_u32_e32 v4, vcc, v5, v8, vcc
	v_subrev_co_u32_e32 v5, vcc, s14, v3
	v_subbrev_co_u32_e32 v6, vcc, 0, v4, vcc
	v_cmp_le_u32_e32 vcc, s14, v5
	v_cndmask_b32_e64 v5, 0, -1, vcc
	v_cmp_eq_u32_e32 vcc, 0, v6
	v_cndmask_b32_e32 v5, -1, v5, vcc
	v_add_co_u32_e32 v6, vcc, 2, v10
	v_addc_co_u32_e32 v7, vcc, 0, v11, vcc
	v_add_co_u32_e32 v8, vcc, 1, v10
	v_cmp_le_u32_e64 s[0:1], s14, v3
	v_addc_co_u32_e32 v9, vcc, 0, v11, vcc
	v_cndmask_b32_e64 v3, 0, -1, s[0:1]
	v_cmp_eq_u32_e64 s[0:1], 0, v4
	v_cmp_ne_u32_e32 vcc, 0, v5
	v_cndmask_b32_e64 v3, -1, v3, s[0:1]
	v_cndmask_b32_e32 v5, v9, v7, vcc
	v_cmp_ne_u32_e64 s[0:1], 0, v3
	v_cndmask_b32_e32 v3, v8, v6, vcc
	v_cndmask_b32_e64 v7, v11, v5, s[0:1]
	v_cndmask_b32_e64 v6, v10, v3, s[0:1]
                                        ; implicit-def: $vgpr3
.LBB1_3:
	s_andn2_saveexec_b64 s[0:1], s[2:3]
	s_cbranch_execz .LBB1_5
; %bb.4:
	v_cvt_f32_u32_e32 v4, s14
	s_sub_i32 s2, 0, s14
	v_mov_b32_e32 v7, 0
	v_rcp_iflag_f32_e32 v4, v4
	v_mul_f32_e32 v4, 0x4f7ffffe, v4
	v_cvt_u32_f32_e32 v4, v4
	v_mul_lo_u32 v5, s2, v4
	v_mul_hi_u32 v5, v4, v5
	v_add_u32_e32 v4, v4, v5
	v_mul_hi_u32 v4, v3, v4
	v_mul_lo_u32 v5, v4, s14
	v_sub_u32_e32 v3, v3, v5
	v_add_u32_e32 v6, 1, v4
	v_subrev_u32_e32 v5, s14, v3
	v_cmp_le_u32_e32 vcc, s14, v3
	v_cndmask_b32_e32 v3, v3, v5, vcc
	v_cndmask_b32_e32 v4, v4, v6, vcc
	v_add_u32_e32 v5, 1, v4
	v_cmp_le_u32_e32 vcc, s14, v3
	v_cndmask_b32_e32 v6, v4, v5, vcc
.LBB1_5:
	s_or_b64 exec, exec, s[0:1]
	s_mul_i32 s0, s6, s13
	s_mul_hi_u32 s1, s6, s12
	s_add_i32 s1, s1, s0
	s_mul_i32 s0, s6, s12
	s_lshl_b64 s[2:3], s[0:1], 2
	s_add_u32 s16, s10, s2
	s_addc_u32 s20, s11, s3
	s_lshl_b64 s[2:3], s[12:13], 1
	v_add_co_u32_e32 v2, vcc, v6, v2
	s_add_u32 s17, s16, s2
	v_addc_co_u32_e32 v3, vcc, 0, v7, vcc
	s_addc_u32 s21, s20, s3
	s_lshl_b64 s[0:1], s[0:1], 1
	v_add_co_u32_e32 v2, vcc, 1, v2
	s_add_u32 s18, s8, s0
	v_addc_co_u32_e32 v3, vcc, 0, v3, vcc
	s_addc_u32 s19, s9, s1
	v_cmp_lt_u64_e32 vcc, 3, v[2:3]
	v_cmp_eq_u16_e64 s[0:1], s14, 1
	s_and_b64 s[2:3], vcc, s[0:1]
	s_mov_b64 s[0:1], -1
	s_and_saveexec_b64 s[8:9], s[2:3]
	s_cbranch_execz .LBB1_9
; %bb.6:
	v_and_b32_e32 v4, -4, v2
	v_mov_b32_e32 v5, v3
	s_mov_b32 s0, 0
	v_lshlrev_b32_e32 v6, 1, v0
	v_mov_b32_e32 v7, 0
	s_lshl_b32 s22, s14, 3
	s_mov_b64 s[10:11], 0
	v_mov_b32_e32 v16, s20
	v_mov_b32_e32 v17, s21
	s_mov_b32 s23, 0x3fb8aa3b
	s_mov_b32 s24, 0x32a5705f
	;; [unrolled: 1-line block ×4, first 2 shown]
	v_mov_b32_e32 v18, 0x7f800000
	v_mov_b32_e32 v19, s19
	;; [unrolled: 1-line block ×3, first 2 shown]
	v_pk_mov_b32 v[8:9], v[4:5], v[4:5] op_sel:[0,1]
.LBB1_7:                                ; =>This Inner Loop Header: Depth=1
	v_add_co_u32_e32 v10, vcc, s16, v6
	v_addc_co_u32_e32 v11, vcc, v16, v7, vcc
	v_add_co_u32_e32 v12, vcc, s17, v6
	v_addc_co_u32_e32 v13, vcc, v17, v7, vcc
	global_load_dwordx2 v[22:23], v[10:11], off
	global_load_dwordx2 v[24:25], v[12:13], off
	v_add_co_u32_e32 v14, vcc, s18, v6
	v_addc_co_u32_e32 v15, vcc, v19, v7, vcc
	v_add_co_u32_e32 v8, vcc, -4, v8
	v_addc_co_u32_e32 v9, vcc, -1, v9, vcc
	v_add_co_u32_e32 v6, vcc, s22, v6
	v_addc_co_u32_e32 v7, vcc, v7, v20, vcc
	v_cmp_eq_u64_e64 s[0:1], 0, v[8:9]
	s_or_b64 s[10:11], s[0:1], s[10:11]
	s_waitcnt vmcnt(1)
	v_cvt_f32_f16_e64 v10, -v23
	v_cvt_f32_f16_sdwa v11, -v23 dst_sel:DWORD dst_unused:UNUSED_PAD src0_sel:WORD_1
	v_cvt_f32_f16_e64 v12, -v22
	v_cvt_f32_f16_sdwa v13, -v22 dst_sel:DWORD dst_unused:UNUSED_PAD src0_sel:WORD_1
	v_mul_f32_e32 v29, 0x3fb8aa3b, v10
	v_mul_f32_e32 v30, 0x3fb8aa3b, v11
	v_fma_mix_f32 v33, -v23, s23, -v29 op_sel_hi:[1,0,0]
	v_rndne_f32_e32 v34, v29
	v_fma_mix_f32 v35, -v23, s23, -v30 op_sel:[1,0,0] op_sel_hi:[1,0,0]
	v_rndne_f32_e32 v36, v30
	v_cvt_f32_f16_sdwa v27, v23 dst_sel:DWORD dst_unused:UNUSED_PAD src0_sel:WORD_1
	v_cvt_f32_f16_e32 v28, v23
	v_mul_f32_e32 v31, 0x3fb8aa3b, v12
	v_mul_f32_e32 v32, 0x3fb8aa3b, v13
	v_fma_mix_f32 v33, -v23, s24, v33 op_sel_hi:[1,0,0]
	v_sub_f32_e32 v29, v29, v34
	v_fma_mix_f32 v23, -v23, s24, v35 op_sel:[1,0,0] op_sel_hi:[1,0,0]
	v_sub_f32_e32 v30, v30, v36
	v_fma_mix_f32 v37, -v22, s23, -v31 op_sel_hi:[1,0,0]
	v_rndne_f32_e32 v38, v31
	v_fma_mix_f32 v39, -v22, s23, -v32 op_sel:[1,0,0] op_sel_hi:[1,0,0]
	v_rndne_f32_e32 v40, v32
	v_add_f32_e32 v29, v29, v33
	v_add_f32_e32 v23, v30, v23
	v_cvt_f32_f16_sdwa v21, v22 dst_sel:DWORD dst_unused:UNUSED_PAD src0_sel:WORD_1
	v_cvt_f32_f16_e32 v26, v22
	v_cvt_i32_f32_e32 v34, v34
	v_cvt_i32_f32_e32 v35, v36
	v_fma_mix_f32 v36, -v22, s24, v37 op_sel_hi:[1,0,0]
	v_sub_f32_e32 v31, v31, v38
	v_fma_mix_f32 v22, -v22, s24, v39 op_sel:[1,0,0] op_sel_hi:[1,0,0]
	v_sub_f32_e32 v32, v32, v40
	v_exp_f32_e32 v29, v29
	v_exp_f32_e32 v23, v23
	v_add_f32_e32 v30, v31, v36
	v_add_f32_e32 v22, v32, v22
	v_cvt_i32_f32_e32 v37, v38
	v_cvt_i32_f32_e32 v38, v40
	v_exp_f32_e32 v30, v30
	v_exp_f32_e32 v22, v22
	v_ldexp_f32 v29, v29, v34
	v_ldexp_f32 v23, v23, v35
	v_cmp_ngt_f32_e32 vcc, s25, v11
	v_cmp_ngt_f32_e64 s[6:7], s25, v10
	v_cndmask_b32_e64 v29, 0, v29, s[6:7]
	v_cndmask_b32_e32 v23, 0, v23, vcc
	v_cmp_nlt_f32_e32 vcc, s26, v11
	v_cmp_nlt_f32_e64 s[6:7], s26, v10
	v_ldexp_f32 v30, v30, v37
	v_cmp_ngt_f32_e64 s[2:3], s25, v12
	v_ldexp_f32 v22, v22, v38
	v_cmp_ngt_f32_e64 s[4:5], s25, v13
	v_cndmask_b32_e64 v10, v18, v29, s[6:7]
	v_cndmask_b32_e32 v11, v18, v23, vcc
	v_cndmask_b32_e64 v30, 0, v30, s[2:3]
	v_cmp_nlt_f32_e64 s[2:3], s26, v12
	v_cndmask_b32_e64 v22, 0, v22, s[4:5]
	v_cmp_nlt_f32_e64 s[4:5], s26, v13
	v_pk_add_f32 v[10:11], v[10:11], 1.0 op_sel_hi:[1,0]
	v_cndmask_b32_e64 v12, v18, v30, s[2:3]
	v_cndmask_b32_e64 v13, v18, v22, s[4:5]
	v_div_scale_f32 v22, s[2:3], v10, v10, v28
	v_pk_add_f32 v[12:13], v[12:13], 1.0 op_sel_hi:[1,0]
	v_div_scale_f32 v29, s[2:3], v11, v11, v27
	v_rcp_f32_e32 v35, v22
	v_div_scale_f32 v31, s[4:5], v12, v12, v26
	v_rcp_f32_e32 v36, v29
	;; [unrolled: 2-line block ×3, first 2 shown]
	v_rcp_f32_e32 v38, v33
	v_fma_f32 v39, -v22, v35, 1.0
	v_div_scale_f32 v23, vcc, v28, v10, v28
	v_fma_f32 v40, -v29, v36, 1.0
	v_fmac_f32_e32 v35, v39, v35
	v_div_scale_f32 v30, s[2:3], v27, v11, v27
	v_fma_f32 v41, -v31, v37, 1.0
	v_fmac_f32_e32 v36, v40, v36
	v_mul_f32_e32 v39, v23, v35
	v_div_scale_f32 v32, s[4:5], v26, v12, v26
	v_fma_f32 v42, -v33, v38, 1.0
	v_fmac_f32_e32 v37, v41, v37
	v_mul_f32_e32 v40, v30, v36
	v_fma_f32 v43, -v22, v39, v23
	v_div_scale_f32 v34, s[6:7], v21, v13, v21
	v_fmac_f32_e32 v38, v42, v38
	v_mul_f32_e32 v41, v32, v37
	v_fma_f32 v44, -v29, v40, v30
	v_fmac_f32_e32 v39, v43, v35
	v_mul_f32_e32 v42, v34, v38
	v_fma_f32 v45, -v31, v41, v32
	v_fmac_f32_e32 v40, v44, v36
	v_fma_f32 v22, -v22, v39, v23
	v_fma_f32 v46, -v33, v42, v34
	v_fmac_f32_e32 v41, v45, v37
	v_fma_f32 v23, -v29, v40, v30
	v_div_fmas_f32 v22, v22, v35, v39
	s_mov_b64 vcc, s[2:3]
	v_fmac_f32_e32 v42, v46, v38
	v_fma_f32 v29, -v31, v41, v32
	v_div_fixup_f32 v10, v22, v10, v28
	v_div_fmas_f32 v22, v23, v36, v40
	s_mov_b64 vcc, s[4:5]
	v_fma_f32 v30, -v33, v42, v34
	v_div_fixup_f32 v11, v22, v11, v27
	v_div_fmas_f32 v22, v29, v37, v41
	s_mov_b64 vcc, s[6:7]
	v_div_fixup_f32 v12, v22, v12, v26
	v_div_fmas_f32 v22, v30, v38, v42
	v_cvt_f16_f32_e32 v10, v10
	v_cvt_f16_f32_e32 v11, v11
	v_div_fixup_f32 v13, v22, v13, v21
	v_cvt_f16_f32_e32 v12, v12
	v_cvt_f16_f32_e32 v13, v13
	v_pack_b32_f16 v10, v10, v11
	s_waitcnt vmcnt(0)
	v_pk_mul_f16 v11, v25, v10
	v_pack_b32_f16 v10, v12, v13
	v_pk_mul_f16 v10, v24, v10
	global_store_dwordx2 v[14:15], v[10:11], off
	s_andn2_b64 exec, exec, s[10:11]
	s_cbranch_execnz .LBB1_7
; %bb.8:
	s_or_b64 exec, exec, s[10:11]
	v_mad_u64_u32 v[0:1], s[0:1], v4, s14, v[0:1]
	v_mov_b32_e32 v6, v1
	v_mad_u64_u32 v[6:7], s[0:1], v5, s14, v[6:7]
	v_cmp_ne_u64_e32 vcc, v[2:3], v[4:5]
	v_mov_b32_e32 v1, v6
	s_orn2_b64 s[0:1], vcc, exec
.LBB1_9:
	s_or_b64 exec, exec, s[8:9]
	s_and_b64 exec, exec, s[0:1]
	s_cbranch_execz .LBB1_12
; %bb.10:
	s_mov_b32 s0, 0
	v_lshlrev_b64 v[2:3], 1, v[0:1]
	s_lshl_b32 s4, s14, 1
	s_mov_b64 s[2:3], 0
	v_mov_b32_e32 v4, s20
	v_mov_b32_e32 v5, s21
	s_mov_b32 s5, 0x3fb8aa3b
	s_mov_b32 s6, 0x32a5705f
	s_mov_b32 s7, 0xc2ce8ed0
	s_mov_b32 s8, 0x42b17218
	v_mov_b32_e32 v6, 0x7f800000
	v_mov_b32_e32 v7, s19
	;; [unrolled: 1-line block ×4, first 2 shown]
.LBB1_11:                               ; =>This Inner Loop Header: Depth=1
	v_add_co_u32_e32 v10, vcc, s16, v2
	v_addc_co_u32_e32 v11, vcc, v4, v3, vcc
	global_load_ushort v12, v[10:11], off
	v_add_co_u32_e32 v10, vcc, s17, v2
	v_addc_co_u32_e32 v11, vcc, v5, v3, vcc
	global_load_ushort v13, v[10:11], off
	v_add_co_u32_e32 v10, vcc, s18, v2
	v_addc_co_u32_e32 v11, vcc, v7, v3, vcc
	v_add_co_u32_e32 v0, vcc, s14, v0
	v_addc_co_u32_e32 v1, vcc, v1, v8, vcc
	v_add_co_u32_e64 v2, s[0:1], s4, v2
	s_waitcnt vmcnt(1)
	v_cvt_f32_f16_e64 v14, -v12
	v_cvt_f32_f16_e32 v15, v12
	v_mul_f32_e32 v16, 0x3fb8aa3b, v14
	v_fma_mix_f32 v17, -v12, s5, -v16 op_sel_hi:[1,0,0]
	v_rndne_f32_e32 v18, v16
	v_fma_mix_f32 v12, -v12, s6, v17 op_sel_hi:[1,0,0]
	v_sub_f32_e32 v16, v16, v18
	v_add_f32_e32 v12, v16, v12
	v_cvt_i32_f32_e32 v17, v18
	v_exp_f32_e32 v12, v12
	v_cmp_ngt_f32_e32 vcc, s7, v14
	v_ldexp_f32 v12, v12, v17
	v_cndmask_b32_e32 v12, 0, v12, vcc
	v_cmp_nlt_f32_e32 vcc, s8, v14
	v_cndmask_b32_e32 v12, v6, v12, vcc
	v_add_f32_e32 v12, 1.0, v12
	v_div_scale_f32 v14, s[10:11], v12, v12, v15
	v_rcp_f32_e32 v16, v14
	v_div_scale_f32 v17, vcc, v15, v12, v15
	v_fma_f32 v18, -v14, v16, 1.0
	v_fmac_f32_e32 v16, v18, v16
	v_mul_f32_e32 v18, v17, v16
	v_fma_f32 v19, -v14, v18, v17
	v_fmac_f32_e32 v18, v19, v16
	v_fma_f32 v14, -v14, v18, v17
	v_div_fmas_f32 v14, v14, v16, v18
	v_div_fixup_f32 v12, v14, v12, v15
	v_cvt_f16_f32_e32 v12, v12
	v_addc_co_u32_e64 v3, vcc, v3, v9, s[0:1]
	v_cmp_le_i64_e32 vcc, s[12:13], v[0:1]
	s_or_b64 s[2:3], vcc, s[2:3]
	s_waitcnt vmcnt(0)
	v_mul_f16_e32 v12, v13, v12
	global_store_short v[10:11], v12, off
	s_andn2_b64 exec, exec, s[2:3]
	s_cbranch_execnz .LBB1_11
.LBB1_12:
	s_endpgm
	.section	.rodata,"a",@progbits
	.p2align	6, 0x0
	.amdhsa_kernel _ZN4vllm18act_and_mul_kernelIN3c104HalfETnPFT_RKS3_EXadL_ZNS_11silu_kernelIS2_EES3_S5_EELb1EEEvPS3_PS4_i
		.amdhsa_group_segment_fixed_size 0
		.amdhsa_private_segment_fixed_size 0
		.amdhsa_kernarg_size 280
		.amdhsa_user_sgpr_count 6
		.amdhsa_user_sgpr_private_segment_buffer 1
		.amdhsa_user_sgpr_dispatch_ptr 0
		.amdhsa_user_sgpr_queue_ptr 0
		.amdhsa_user_sgpr_kernarg_segment_ptr 1
		.amdhsa_user_sgpr_dispatch_id 0
		.amdhsa_user_sgpr_flat_scratch_init 0
		.amdhsa_user_sgpr_kernarg_preload_length 0
		.amdhsa_user_sgpr_kernarg_preload_offset 0
		.amdhsa_user_sgpr_private_segment_size 0
		.amdhsa_uses_dynamic_stack 0
		.amdhsa_system_sgpr_private_segment_wavefront_offset 0
		.amdhsa_system_sgpr_workgroup_id_x 1
		.amdhsa_system_sgpr_workgroup_id_y 0
		.amdhsa_system_sgpr_workgroup_id_z 0
		.amdhsa_system_sgpr_workgroup_info 0
		.amdhsa_system_vgpr_workitem_id 0
		.amdhsa_next_free_vgpr 47
		.amdhsa_next_free_sgpr 27
		.amdhsa_accum_offset 48
		.amdhsa_reserve_vcc 1
		.amdhsa_reserve_flat_scratch 0
		.amdhsa_float_round_mode_32 0
		.amdhsa_float_round_mode_16_64 0
		.amdhsa_float_denorm_mode_32 3
		.amdhsa_float_denorm_mode_16_64 3
		.amdhsa_dx10_clamp 1
		.amdhsa_ieee_mode 1
		.amdhsa_fp16_overflow 0
		.amdhsa_tg_split 0
		.amdhsa_exception_fp_ieee_invalid_op 0
		.amdhsa_exception_fp_denorm_src 0
		.amdhsa_exception_fp_ieee_div_zero 0
		.amdhsa_exception_fp_ieee_overflow 0
		.amdhsa_exception_fp_ieee_underflow 0
		.amdhsa_exception_fp_ieee_inexact 0
		.amdhsa_exception_int_div_zero 0
	.end_amdhsa_kernel
	.section	.text._ZN4vllm18act_and_mul_kernelIN3c104HalfETnPFT_RKS3_EXadL_ZNS_11silu_kernelIS2_EES3_S5_EELb1EEEvPS3_PS4_i,"axG",@progbits,_ZN4vllm18act_and_mul_kernelIN3c104HalfETnPFT_RKS3_EXadL_ZNS_11silu_kernelIS2_EES3_S5_EELb1EEEvPS3_PS4_i,comdat
.Lfunc_end1:
	.size	_ZN4vllm18act_and_mul_kernelIN3c104HalfETnPFT_RKS3_EXadL_ZNS_11silu_kernelIS2_EES3_S5_EELb1EEEvPS3_PS4_i, .Lfunc_end1-_ZN4vllm18act_and_mul_kernelIN3c104HalfETnPFT_RKS3_EXadL_ZNS_11silu_kernelIS2_EES3_S5_EELb1EEEvPS3_PS4_i
                                        ; -- End function
	.section	.AMDGPU.csdata,"",@progbits
; Kernel info:
; codeLenInByte = 2200
; NumSgprs: 31
; NumVgprs: 47
; NumAgprs: 0
; TotalNumVgprs: 47
; ScratchSize: 0
; MemoryBound: 0
; FloatMode: 240
; IeeeMode: 1
; LDSByteSize: 0 bytes/workgroup (compile time only)
; SGPRBlocks: 3
; VGPRBlocks: 5
; NumSGPRsForWavesPerEU: 31
; NumVGPRsForWavesPerEU: 47
; AccumOffset: 48
; Occupancy: 8
; WaveLimiterHint : 0
; COMPUTE_PGM_RSRC2:SCRATCH_EN: 0
; COMPUTE_PGM_RSRC2:USER_SGPR: 6
; COMPUTE_PGM_RSRC2:TRAP_HANDLER: 0
; COMPUTE_PGM_RSRC2:TGID_X_EN: 1
; COMPUTE_PGM_RSRC2:TGID_Y_EN: 0
; COMPUTE_PGM_RSRC2:TGID_Z_EN: 0
; COMPUTE_PGM_RSRC2:TIDIG_COMP_CNT: 0
; COMPUTE_PGM_RSRC3_GFX90A:ACCUM_OFFSET: 11
; COMPUTE_PGM_RSRC3_GFX90A:TG_SPLIT: 0
	.section	.text._ZN4vllm18act_and_mul_kernelIN3c108BFloat16ETnPFT_RKS3_EXadL_ZNS_11silu_kernelIS2_EES3_S5_EELb1EEEvPS3_PS4_i,"axG",@progbits,_ZN4vllm18act_and_mul_kernelIN3c108BFloat16ETnPFT_RKS3_EXadL_ZNS_11silu_kernelIS2_EES3_S5_EELb1EEEvPS3_PS4_i,comdat
	.protected	_ZN4vllm18act_and_mul_kernelIN3c108BFloat16ETnPFT_RKS3_EXadL_ZNS_11silu_kernelIS2_EES3_S5_EELb1EEEvPS3_PS4_i ; -- Begin function _ZN4vllm18act_and_mul_kernelIN3c108BFloat16ETnPFT_RKS3_EXadL_ZNS_11silu_kernelIS2_EES3_S5_EELb1EEEvPS3_PS4_i
	.globl	_ZN4vllm18act_and_mul_kernelIN3c108BFloat16ETnPFT_RKS3_EXadL_ZNS_11silu_kernelIS2_EES3_S5_EELb1EEEvPS3_PS4_i
	.p2align	8
	.type	_ZN4vllm18act_and_mul_kernelIN3c108BFloat16ETnPFT_RKS3_EXadL_ZNS_11silu_kernelIS2_EES3_S5_EELb1EEEvPS3_PS4_i,@function
_ZN4vllm18act_and_mul_kernelIN3c108BFloat16ETnPFT_RKS3_EXadL_ZNS_11silu_kernelIS2_EES3_S5_EELb1EEEvPS3_PS4_i: ; @_ZN4vllm18act_and_mul_kernelIN3c108BFloat16ETnPFT_RKS3_EXadL_ZNS_11silu_kernelIS2_EES3_S5_EELb1EEEvPS3_PS4_i
; %bb.0:
	s_load_dword s12, s[4:5], 0x10
	s_waitcnt lgkmcnt(0)
	v_cmp_gt_i32_e32 vcc, s12, v0
	s_and_saveexec_b64 s[0:1], vcc
	s_cbranch_execz .LBB2_12
; %bb.1:
	s_load_dword s0, s[4:5], 0x24
	s_load_dwordx4 s[8:11], s[4:5], 0x0
	s_ashr_i32 s13, s12, 31
	v_mov_b32_e32 v2, s13
	v_mov_b32_e32 v1, 0
	s_waitcnt lgkmcnt(0)
	s_and_b32 s14, s0, 0xffff
	v_add_co_u32_e32 v4, vcc, s14, v0
	v_addc_co_u32_e64 v5, s[0:1], 0, 0, vcc
	v_cmp_lt_i64_e32 vcc, s[12:13], v[4:5]
	v_cndmask_b32_e32 v6, v2, v5, vcc
	v_mov_b32_e32 v2, s12
	v_cndmask_b32_e32 v3, v2, v4, vcc
	v_cmp_gt_i64_e32 vcc, s[12:13], v[4:5]
	v_cndmask_b32_e64 v2, 0, 1, vcc
	v_add_co_u32_e32 v4, vcc, v4, v2
	v_addc_co_u32_e32 v5, vcc, 0, v5, vcc
	v_sub_co_u32_e32 v3, vcc, v3, v4
	v_subb_co_u32_e32 v5, vcc, v6, v5, vcc
	v_mov_b32_e32 v4, v1
	s_mov_b32 s15, 0
	v_cmp_ne_u64_e32 vcc, 0, v[4:5]
                                        ; implicit-def: $vgpr6_vgpr7
	s_and_saveexec_b64 s[0:1], vcc
	s_xor_b64 s[2:3], exec, s[0:1]
	s_cbranch_execz .LBB2_3
; %bb.2:
	v_cvt_f32_u32_e32 v4, s14
	v_mov_b32_e32 v6, 0x4f800000
	s_sub_u32 s0, 0, s14
	s_subb_u32 s1, 0, 0
	v_mac_f32_e32 v4, 0, v6
	v_rcp_f32_e32 v4, v4
	v_mul_f32_e32 v4, 0x5f7ffffc, v4
	v_mul_f32_e32 v6, 0x2f800000, v4
	v_trunc_f32_e32 v6, v6
	v_madmk_f32 v4, v6, 0xcf800000, v4
	v_cvt_u32_f32_e32 v6, v6
	v_cvt_u32_f32_e32 v4, v4
	v_mul_lo_u32 v7, s0, v6
	v_mul_hi_u32 v9, s0, v4
	v_mul_lo_u32 v8, s1, v4
	v_add_u32_e32 v7, v9, v7
	v_mul_lo_u32 v10, s0, v4
	v_add_u32_e32 v7, v7, v8
	v_mul_hi_u32 v9, v4, v10
	v_mul_lo_u32 v11, v4, v7
	v_mul_hi_u32 v8, v4, v7
	v_add_co_u32_e32 v9, vcc, v9, v11
	v_addc_co_u32_e32 v8, vcc, 0, v8, vcc
	v_mul_hi_u32 v12, v6, v10
	v_mul_lo_u32 v10, v6, v10
	v_add_co_u32_e32 v9, vcc, v9, v10
	v_mul_hi_u32 v11, v6, v7
	v_addc_co_u32_e32 v8, vcc, v8, v12, vcc
	v_addc_co_u32_e32 v9, vcc, 0, v11, vcc
	v_mul_lo_u32 v7, v6, v7
	v_add_co_u32_e32 v7, vcc, v8, v7
	v_addc_co_u32_e32 v8, vcc, 0, v9, vcc
	v_add_co_u32_e32 v4, vcc, v4, v7
	v_addc_co_u32_e32 v6, vcc, v6, v8, vcc
	v_mul_lo_u32 v7, s0, v6
	v_mul_hi_u32 v8, s0, v4
	v_add_u32_e32 v7, v8, v7
	v_mul_lo_u32 v8, s1, v4
	v_add_u32_e32 v7, v7, v8
	v_mul_lo_u32 v9, s0, v4
	v_mul_hi_u32 v10, v6, v9
	v_mul_lo_u32 v11, v6, v9
	v_mul_lo_u32 v13, v4, v7
	v_mul_hi_u32 v9, v4, v9
	v_mul_hi_u32 v12, v4, v7
	v_add_co_u32_e32 v9, vcc, v9, v13
	v_addc_co_u32_e32 v12, vcc, 0, v12, vcc
	v_add_co_u32_e32 v9, vcc, v9, v11
	v_mul_hi_u32 v8, v6, v7
	v_addc_co_u32_e32 v9, vcc, v12, v10, vcc
	v_addc_co_u32_e32 v8, vcc, 0, v8, vcc
	v_mul_lo_u32 v7, v6, v7
	v_add_co_u32_e32 v7, vcc, v9, v7
	v_addc_co_u32_e32 v8, vcc, 0, v8, vcc
	v_add_co_u32_e32 v4, vcc, v4, v7
	v_addc_co_u32_e32 v8, vcc, v6, v8, vcc
	v_mad_u64_u32 v[6:7], s[0:1], v3, v8, 0
	v_mul_hi_u32 v9, v3, v4
	v_add_co_u32_e32 v10, vcc, v9, v6
	v_addc_co_u32_e32 v11, vcc, 0, v7, vcc
	v_mad_u64_u32 v[6:7], s[0:1], v5, v8, 0
	v_mad_u64_u32 v[8:9], s[0:1], v5, v4, 0
	v_add_co_u32_e32 v4, vcc, v10, v8
	v_addc_co_u32_e32 v4, vcc, v11, v9, vcc
	v_addc_co_u32_e32 v7, vcc, 0, v7, vcc
	v_add_co_u32_e32 v10, vcc, v4, v6
	v_addc_co_u32_e32 v11, vcc, 0, v7, vcc
	v_mad_u64_u32 v[6:7], s[0:1], s14, v10, 0
	v_mov_b32_e32 v4, v7
	v_mad_u64_u32 v[8:9], s[0:1], s14, v11, v[4:5]
	v_sub_co_u32_e32 v3, vcc, v3, v6
	v_subb_co_u32_e32 v4, vcc, v5, v8, vcc
	v_subrev_co_u32_e32 v5, vcc, s14, v3
	v_subbrev_co_u32_e32 v6, vcc, 0, v4, vcc
	v_cmp_le_u32_e32 vcc, s14, v5
	v_cndmask_b32_e64 v5, 0, -1, vcc
	v_cmp_eq_u32_e32 vcc, 0, v6
	v_cndmask_b32_e32 v5, -1, v5, vcc
	v_add_co_u32_e32 v6, vcc, 2, v10
	v_addc_co_u32_e32 v7, vcc, 0, v11, vcc
	v_add_co_u32_e32 v8, vcc, 1, v10
	v_cmp_le_u32_e64 s[0:1], s14, v3
	v_addc_co_u32_e32 v9, vcc, 0, v11, vcc
	v_cndmask_b32_e64 v3, 0, -1, s[0:1]
	v_cmp_eq_u32_e64 s[0:1], 0, v4
	v_cmp_ne_u32_e32 vcc, 0, v5
	v_cndmask_b32_e64 v3, -1, v3, s[0:1]
	v_cndmask_b32_e32 v5, v9, v7, vcc
	v_cmp_ne_u32_e64 s[0:1], 0, v3
	v_cndmask_b32_e32 v3, v8, v6, vcc
	v_cndmask_b32_e64 v7, v11, v5, s[0:1]
	v_cndmask_b32_e64 v6, v10, v3, s[0:1]
                                        ; implicit-def: $vgpr3
.LBB2_3:
	s_andn2_saveexec_b64 s[0:1], s[2:3]
	s_cbranch_execz .LBB2_5
; %bb.4:
	v_cvt_f32_u32_e32 v4, s14
	s_sub_i32 s2, 0, s14
	v_mov_b32_e32 v7, 0
	v_rcp_iflag_f32_e32 v4, v4
	v_mul_f32_e32 v4, 0x4f7ffffe, v4
	v_cvt_u32_f32_e32 v4, v4
	v_mul_lo_u32 v5, s2, v4
	v_mul_hi_u32 v5, v4, v5
	v_add_u32_e32 v4, v4, v5
	v_mul_hi_u32 v4, v3, v4
	v_mul_lo_u32 v5, v4, s14
	v_sub_u32_e32 v3, v3, v5
	v_add_u32_e32 v6, 1, v4
	v_subrev_u32_e32 v5, s14, v3
	v_cmp_le_u32_e32 vcc, s14, v3
	v_cndmask_b32_e32 v3, v3, v5, vcc
	v_cndmask_b32_e32 v4, v4, v6, vcc
	v_add_u32_e32 v5, 1, v4
	v_cmp_le_u32_e32 vcc, s14, v3
	v_cndmask_b32_e32 v6, v4, v5, vcc
.LBB2_5:
	s_or_b64 exec, exec, s[0:1]
	s_mul_i32 s0, s6, s13
	s_mul_hi_u32 s1, s6, s12
	s_add_i32 s1, s1, s0
	s_mul_i32 s0, s6, s12
	s_lshl_b64 s[2:3], s[0:1], 2
	s_add_u32 s10, s10, s2
	s_addc_u32 s18, s11, s3
	s_lshl_b64 s[2:3], s[12:13], 1
	v_add_co_u32_e32 v2, vcc, v6, v2
	s_add_u32 s11, s10, s2
	v_addc_co_u32_e32 v3, vcc, 0, v7, vcc
	s_addc_u32 s19, s18, s3
	s_lshl_b64 s[0:1], s[0:1], 1
	v_add_co_u32_e32 v2, vcc, 1, v2
	s_add_u32 s16, s8, s0
	v_addc_co_u32_e32 v3, vcc, 0, v3, vcc
	s_addc_u32 s17, s9, s1
	v_cmp_lt_u64_e32 vcc, 3, v[2:3]
	v_cmp_eq_u16_e64 s[0:1], s14, 1
	s_and_b64 s[2:3], vcc, s[0:1]
	s_mov_b64 s[0:1], -1
	s_and_saveexec_b64 s[6:7], s[2:3]
	s_cbranch_execz .LBB2_9
; %bb.6:
	v_and_b32_e32 v4, -4, v2
	v_mov_b32_e32 v5, v3
	s_mov_b32 s0, 0
	v_lshlrev_b32_e32 v6, 1, v0
	v_mov_b32_e32 v7, 0
	s_lshl_b32 s20, s14, 3
	s_mov_b64 s[8:9], 0
	v_mov_b32_e32 v16, s18
	v_mov_b32_e32 v17, s19
	s_movk_i32 s21, 0x7fff
	v_mov_b32_e32 v18, 0x7fc00000
	s_mov_b32 s22, 0x3fb8aa3b
	s_mov_b32 s23, 0xc2ce8ed0
	;; [unrolled: 1-line block ×3, first 2 shown]
	v_mov_b32_e32 v19, 0x7f800000
	v_mov_b32_e32 v20, 0x7fc0
	s_mov_b32 s25, 0x5040100
	v_mov_b32_e32 v21, s17
	v_mov_b32_e32 v22, s0
	v_pk_mov_b32 v[8:9], v[4:5], v[4:5] op_sel:[0,1]
.LBB2_7:                                ; =>This Inner Loop Header: Depth=1
	v_add_co_u32_e32 v10, vcc, s10, v6
	v_addc_co_u32_e32 v11, vcc, v16, v7, vcc
	v_add_co_u32_e32 v12, vcc, s11, v6
	v_addc_co_u32_e32 v13, vcc, v17, v7, vcc
	global_load_dwordx2 v[24:25], v[10:11], off
	global_load_dwordx2 v[26:27], v[12:13], off
	v_add_co_u32_e32 v14, vcc, s16, v6
	v_addc_co_u32_e32 v15, vcc, v21, v7, vcc
	v_add_co_u32_e32 v8, vcc, -4, v8
	v_addc_co_u32_e32 v9, vcc, -1, v9, vcc
	v_add_co_u32_e32 v6, vcc, s20, v6
	v_addc_co_u32_e32 v7, vcc, v7, v22, vcc
	v_cmp_eq_u64_e32 vcc, 0, v[8:9]
	s_or_b64 s[8:9], vcc, s[8:9]
	s_waitcnt vmcnt(1)
	v_and_b32_e32 v23, 0xffff0000, v25
	v_lshlrev_b32_e32 v28, 16, v25
	v_and_b32_e32 v29, 0xffff0000, v24
	v_lshlrev_b32_e32 v30, 16, v24
	s_waitcnt vmcnt(0)
	v_and_b32_e32 v13, 0xffff0000, v27
	v_lshlrev_b32_e32 v12, 16, v27
	v_and_b32_e32 v11, 0xffff0000, v26
	v_lshlrev_b32_e32 v10, 16, v26
	v_xor_b32_e32 v26, 0x80000000, v28
	v_xor_b32_e32 v27, 0x80000000, v23
	;; [unrolled: 1-line block ×4, first 2 shown]
	v_bfe_u32 v31, v27, 16, 1
	v_bfe_u32 v32, v26, 16, 1
	v_bfe_u32 v33, v25, 16, 1
	v_bfe_u32 v34, v24, 16, 1
	v_add3_u32 v26, v26, v32, s21
	v_add3_u32 v27, v27, v31, s21
	;; [unrolled: 1-line block ×4, first 2 shown]
	v_and_b32_e32 v27, 0xffff0000, v27
	v_and_b32_e32 v26, 0xffff0000, v26
	v_cmp_o_f32_e64 s[0:1], v28, v28
	v_cmp_o_f32_e64 s[2:3], v23, v23
	v_and_b32_e32 v25, 0xffff0000, v25
	v_and_b32_e32 v24, 0xffff0000, v24
	v_cmp_o_f32_e32 vcc, v29, v29
	v_cmp_o_f32_e64 s[4:5], v30, v30
	v_cndmask_b32_e64 v26, v18, v26, s[0:1]
	v_cndmask_b32_e64 v27, v18, v27, s[2:3]
	;; [unrolled: 1-line block ×3, first 2 shown]
	v_cndmask_b32_e32 v25, v18, v25, vcc
	v_mul_f32_e32 v31, 0x3fb8aa3b, v27
	v_mul_f32_e32 v32, 0x3fb8aa3b, v26
	;; [unrolled: 1-line block ×4, first 2 shown]
	v_fma_f32 v35, v27, s22, -v31
	v_rndne_f32_e32 v36, v31
	v_fma_f32 v37, v26, s22, -v32
	v_rndne_f32_e32 v38, v32
	;; [unrolled: 2-line block ×4, first 2 shown]
	v_fmac_f32_e32 v35, 0x32a5705f, v27
	v_sub_f32_e32 v31, v31, v36
	v_fmac_f32_e32 v37, 0x32a5705f, v26
	v_sub_f32_e32 v32, v32, v38
	;; [unrolled: 2-line block ×4, first 2 shown]
	v_add_f32_e32 v31, v31, v35
	v_add_f32_e32 v32, v32, v37
	v_cvt_i32_f32_e32 v36, v36
	v_cvt_i32_f32_e32 v38, v38
	v_add_f32_e32 v33, v33, v39
	v_add_f32_e32 v34, v34, v41
	v_exp_f32_e32 v31, v31
	v_exp_f32_e32 v32, v32
	v_cvt_i32_f32_e32 v40, v40
	v_cvt_i32_f32_e32 v42, v42
	v_exp_f32_e32 v33, v33
	v_exp_f32_e32 v34, v34
	v_ldexp_f32 v31, v31, v36
	v_ldexp_f32 v32, v32, v38
	v_cmp_ngt_f32_e32 vcc, s23, v26
	v_cmp_ngt_f32_e64 s[4:5], s23, v27
	v_ldexp_f32 v33, v33, v40
	v_cmp_ngt_f32_e64 s[0:1], s23, v25
	v_ldexp_f32 v34, v34, v42
	v_cmp_ngt_f32_e64 s[2:3], s23, v24
	v_cndmask_b32_e64 v31, 0, v31, s[4:5]
	v_cndmask_b32_e32 v32, 0, v32, vcc
	v_cmp_nlt_f32_e32 vcc, s24, v26
	v_cmp_nlt_f32_e64 s[4:5], s24, v27
	v_cndmask_b32_e64 v26, 0, v33, s[0:1]
	v_cmp_nlt_f32_e64 s[0:1], s24, v25
	v_cndmask_b32_e64 v33, 0, v34, s[2:3]
	;; [unrolled: 2-line block ×3, first 2 shown]
	v_cndmask_b32_e32 v24, v19, v32, vcc
	v_pk_add_f32 v[24:25], v[24:25], 1.0 op_sel_hi:[1,0]
	v_cndmask_b32_e64 v27, v19, v26, s[0:1]
	v_cndmask_b32_e64 v26, v19, v33, s[2:3]
	v_div_scale_f32 v31, s[0:1], v25, v25, v23
	v_pk_add_f32 v[26:27], v[26:27], 1.0 op_sel_hi:[1,0]
	v_div_scale_f32 v33, s[0:1], v24, v24, v28
	v_rcp_f32_e32 v39, v31
	v_div_scale_f32 v35, s[2:3], v27, v27, v29
	v_rcp_f32_e32 v40, v33
	;; [unrolled: 2-line block ×3, first 2 shown]
	v_rcp_f32_e32 v42, v37
	v_fma_f32 v43, -v31, v39, 1.0
	v_div_scale_f32 v32, vcc, v23, v25, v23
	v_fma_f32 v44, -v33, v40, 1.0
	v_fmac_f32_e32 v39, v43, v39
	v_div_scale_f32 v34, s[0:1], v28, v24, v28
	v_fma_f32 v45, -v35, v41, 1.0
	v_fmac_f32_e32 v40, v44, v40
	v_mul_f32_e32 v43, v32, v39
	v_div_scale_f32 v36, s[2:3], v29, v27, v29
	v_fma_f32 v46, -v37, v42, 1.0
	v_fmac_f32_e32 v41, v45, v41
	v_mul_f32_e32 v44, v34, v40
	v_fma_f32 v47, -v31, v43, v32
	v_div_scale_f32 v38, s[4:5], v30, v26, v30
	v_fmac_f32_e32 v42, v46, v42
	v_mul_f32_e32 v45, v36, v41
	v_fma_f32 v48, -v33, v44, v34
	v_fmac_f32_e32 v43, v47, v39
	v_mul_f32_e32 v46, v38, v42
	v_fma_f32 v49, -v35, v45, v36
	v_fmac_f32_e32 v44, v48, v40
	v_fma_f32 v31, -v31, v43, v32
	v_fma_f32 v50, -v37, v46, v38
	v_fmac_f32_e32 v45, v49, v41
	v_fma_f32 v32, -v33, v44, v34
	v_div_fmas_f32 v31, v31, v39, v43
	s_mov_b64 vcc, s[0:1]
	v_fmac_f32_e32 v46, v50, v42
	v_fma_f32 v33, -v35, v45, v36
	v_div_fixup_f32 v23, v31, v25, v23
	v_div_fmas_f32 v25, v32, v40, v44
	s_mov_b64 vcc, s[2:3]
	v_fma_f32 v34, -v37, v46, v38
	v_div_fixup_f32 v24, v25, v24, v28
	v_div_fmas_f32 v25, v33, v41, v45
	v_bfe_u32 v28, v23, 16, 1
	s_mov_b64 vcc, s[4:5]
	v_div_fixup_f32 v27, v25, v27, v29
	v_div_fmas_f32 v25, v34, v42, v46
	v_bfe_u32 v29, v24, 16, 1
	v_add3_u32 v28, v23, v28, s21
	v_div_fixup_f32 v26, v25, v26, v30
	v_bfe_u32 v25, v27, 16, 1
	v_add3_u32 v29, v24, v29, s21
	v_and_b32_e32 v28, 0xffff0000, v28
	v_cmp_o_f32_e32 vcc, v23, v23
	v_bfe_u32 v23, v26, 16, 1
	v_add3_u32 v30, v27, v25, s21
	v_and_b32_e32 v29, 0xffff0000, v29
	v_cndmask_b32_e32 v25, v18, v28, vcc
	v_cmp_o_f32_e32 vcc, v24, v24
	v_add3_u32 v23, v26, v23, s21
	v_and_b32_e32 v28, 0xffff0000, v30
	v_cndmask_b32_e32 v24, v18, v29, vcc
	v_cmp_o_f32_e32 vcc, v27, v27
	v_and_b32_e32 v23, 0xffff0000, v23
	v_cndmask_b32_e32 v27, v18, v28, vcc
	v_cmp_o_f32_e32 vcc, v26, v26
	v_pk_mul_f32 v[12:13], v[24:25], v[12:13]
	v_cndmask_b32_e32 v26, v18, v23, vcc
	v_bfe_u32 v23, v12, 16, 1
	v_bfe_u32 v24, v13, 16, 1
	v_pk_mul_f32 v[10:11], v[26:27], v[10:11]
	v_add3_u32 v24, v13, v24, s21
	v_add3_u32 v23, v12, v23, s21
	v_bfe_u32 v25, v10, 16, 1
	v_bfe_u32 v26, v11, 16, 1
	v_lshrrev_b32_e32 v23, 16, v23
	v_lshrrev_b32_e32 v24, 16, v24
	v_cmp_o_f32_e32 vcc, v13, v13
	v_cmp_o_f32_e64 s[0:1], v12, v12
	v_add3_u32 v12, v11, v26, s21
	v_add3_u32 v13, v10, v25, s21
	v_cndmask_b32_e64 v23, v20, v23, s[0:1]
	v_cndmask_b32_e32 v24, v20, v24, vcc
	v_lshrrev_b32_e32 v13, 16, v13
	v_lshrrev_b32_e32 v12, 16, v12
	v_cmp_o_f32_e32 vcc, v11, v11
	v_cmp_o_f32_e64 s[0:1], v10, v10
	v_cndmask_b32_e64 v10, v20, v13, s[0:1]
	v_cndmask_b32_e32 v12, v20, v12, vcc
	v_perm_b32 v11, v24, v23, s25
	v_perm_b32 v10, v12, v10, s25
	global_store_dwordx2 v[14:15], v[10:11], off
	s_andn2_b64 exec, exec, s[8:9]
	s_cbranch_execnz .LBB2_7
; %bb.8:
	s_or_b64 exec, exec, s[8:9]
	v_mad_u64_u32 v[0:1], s[0:1], v4, s14, v[0:1]
	v_mov_b32_e32 v6, v1
	v_mad_u64_u32 v[6:7], s[0:1], v5, s14, v[6:7]
	v_cmp_ne_u64_e32 vcc, v[2:3], v[4:5]
	v_mov_b32_e32 v1, v6
	s_orn2_b64 s[0:1], vcc, exec
.LBB2_9:
	s_or_b64 exec, exec, s[6:7]
	s_and_b64 exec, exec, s[0:1]
	s_cbranch_execz .LBB2_12
; %bb.10:
	s_mov_b32 s7, 0
	v_lshlrev_b64 v[2:3], 1, v[0:1]
	s_lshl_b32 s2, s14, 1
	s_mov_b64 s[0:1], 0
	v_mov_b32_e32 v4, s18
	v_mov_b32_e32 v5, s19
	s_movk_i32 s3, 0x7fff
	v_mov_b32_e32 v6, 0x7fc00000
	s_mov_b32 s4, 0x3fb8aa3b
	s_mov_b32 s5, 0xc2ce8ed0
	s_mov_b32 s6, 0x42b17218
	v_mov_b32_e32 v7, 0x7f800000
	v_mov_b32_e32 v8, 0x7fc0
	;; [unrolled: 1-line block ×5, first 2 shown]
.LBB2_11:                               ; =>This Inner Loop Header: Depth=1
	v_add_co_u32_e32 v12, vcc, s10, v2
	v_addc_co_u32_e32 v13, vcc, v4, v3, vcc
	v_add_co_u32_e32 v14, vcc, s11, v2
	v_addc_co_u32_e32 v15, vcc, v5, v3, vcc
	global_load_ushort v16, v[12:13], off
	global_load_ushort v17, v[14:15], off
	v_add_co_u32_e32 v12, vcc, s16, v2
	v_addc_co_u32_e32 v13, vcc, v9, v3, vcc
	v_add_co_u32_e32 v0, vcc, s14, v0
	v_addc_co_u32_e32 v1, vcc, v1, v10, vcc
	v_add_co_u32_e32 v2, vcc, s2, v2
	v_addc_co_u32_e32 v3, vcc, v3, v11, vcc
	v_cmp_le_i64_e32 vcc, s[12:13], v[0:1]
	s_or_b64 s[0:1], vcc, s[0:1]
	s_waitcnt vmcnt(1)
	v_lshlrev_b32_e32 v14, 16, v16
	v_xor_b32_e32 v16, 0x80000000, v14
	s_waitcnt vmcnt(0)
	v_lshlrev_b32_e32 v15, 16, v17
	v_bfe_u32 v17, v16, 16, 1
	v_add3_u32 v16, v16, v17, s3
	v_and_b32_e32 v16, 0xffff0000, v16
	v_cmp_o_f32_e32 vcc, v14, v14
	v_cndmask_b32_e32 v16, v6, v16, vcc
	v_mul_f32_e32 v17, 0x3fb8aa3b, v16
	v_fma_f32 v18, v16, s4, -v17
	v_rndne_f32_e32 v19, v17
	v_fmac_f32_e32 v18, 0x32a5705f, v16
	v_sub_f32_e32 v17, v17, v19
	v_add_f32_e32 v17, v17, v18
	v_cvt_i32_f32_e32 v19, v19
	v_exp_f32_e32 v17, v17
	v_cmp_ngt_f32_e32 vcc, s5, v16
	v_ldexp_f32 v17, v17, v19
	v_cndmask_b32_e32 v17, 0, v17, vcc
	v_cmp_nlt_f32_e32 vcc, s6, v16
	v_cndmask_b32_e32 v16, v7, v17, vcc
	v_add_f32_e32 v16, 1.0, v16
	v_div_scale_f32 v17, s[8:9], v16, v16, v14
	v_rcp_f32_e32 v19, v17
	v_div_scale_f32 v18, vcc, v14, v16, v14
	v_fma_f32 v20, -v17, v19, 1.0
	v_fmac_f32_e32 v19, v20, v19
	v_mul_f32_e32 v20, v18, v19
	v_fma_f32 v21, -v17, v20, v18
	v_fmac_f32_e32 v20, v21, v19
	v_fma_f32 v17, -v17, v20, v18
	v_div_fmas_f32 v17, v17, v19, v20
	v_div_fixup_f32 v14, v17, v16, v14
	v_bfe_u32 v16, v14, 16, 1
	v_add3_u32 v16, v14, v16, s3
	v_and_b32_e32 v16, 0xffff0000, v16
	v_cmp_o_f32_e32 vcc, v14, v14
	v_cndmask_b32_e32 v14, v6, v16, vcc
	v_mul_f32_e32 v14, v14, v15
	v_bfe_u32 v15, v14, 16, 1
	v_add3_u32 v15, v14, v15, s3
	v_lshrrev_b32_e32 v15, 16, v15
	v_cmp_o_f32_e32 vcc, v14, v14
	v_cndmask_b32_e32 v14, v8, v15, vcc
	global_store_short v[12:13], v14, off
	s_andn2_b64 exec, exec, s[0:1]
	s_cbranch_execnz .LBB2_11
.LBB2_12:
	s_endpgm
	.section	.rodata,"a",@progbits
	.p2align	6, 0x0
	.amdhsa_kernel _ZN4vllm18act_and_mul_kernelIN3c108BFloat16ETnPFT_RKS3_EXadL_ZNS_11silu_kernelIS2_EES3_S5_EELb1EEEvPS3_PS4_i
		.amdhsa_group_segment_fixed_size 0
		.amdhsa_private_segment_fixed_size 0
		.amdhsa_kernarg_size 280
		.amdhsa_user_sgpr_count 6
		.amdhsa_user_sgpr_private_segment_buffer 1
		.amdhsa_user_sgpr_dispatch_ptr 0
		.amdhsa_user_sgpr_queue_ptr 0
		.amdhsa_user_sgpr_kernarg_segment_ptr 1
		.amdhsa_user_sgpr_dispatch_id 0
		.amdhsa_user_sgpr_flat_scratch_init 0
		.amdhsa_user_sgpr_kernarg_preload_length 0
		.amdhsa_user_sgpr_kernarg_preload_offset 0
		.amdhsa_user_sgpr_private_segment_size 0
		.amdhsa_uses_dynamic_stack 0
		.amdhsa_system_sgpr_private_segment_wavefront_offset 0
		.amdhsa_system_sgpr_workgroup_id_x 1
		.amdhsa_system_sgpr_workgroup_id_y 0
		.amdhsa_system_sgpr_workgroup_id_z 0
		.amdhsa_system_sgpr_workgroup_info 0
		.amdhsa_system_vgpr_workitem_id 0
		.amdhsa_next_free_vgpr 51
		.amdhsa_next_free_sgpr 26
		.amdhsa_accum_offset 52
		.amdhsa_reserve_vcc 1
		.amdhsa_reserve_flat_scratch 0
		.amdhsa_float_round_mode_32 0
		.amdhsa_float_round_mode_16_64 0
		.amdhsa_float_denorm_mode_32 3
		.amdhsa_float_denorm_mode_16_64 3
		.amdhsa_dx10_clamp 1
		.amdhsa_ieee_mode 1
		.amdhsa_fp16_overflow 0
		.amdhsa_tg_split 0
		.amdhsa_exception_fp_ieee_invalid_op 0
		.amdhsa_exception_fp_denorm_src 0
		.amdhsa_exception_fp_ieee_div_zero 0
		.amdhsa_exception_fp_ieee_overflow 0
		.amdhsa_exception_fp_ieee_underflow 0
		.amdhsa_exception_fp_ieee_inexact 0
		.amdhsa_exception_int_div_zero 0
	.end_amdhsa_kernel
	.section	.text._ZN4vllm18act_and_mul_kernelIN3c108BFloat16ETnPFT_RKS3_EXadL_ZNS_11silu_kernelIS2_EES3_S5_EELb1EEEvPS3_PS4_i,"axG",@progbits,_ZN4vllm18act_and_mul_kernelIN3c108BFloat16ETnPFT_RKS3_EXadL_ZNS_11silu_kernelIS2_EES3_S5_EELb1EEEvPS3_PS4_i,comdat
.Lfunc_end2:
	.size	_ZN4vllm18act_and_mul_kernelIN3c108BFloat16ETnPFT_RKS3_EXadL_ZNS_11silu_kernelIS2_EES3_S5_EELb1EEEvPS3_PS4_i, .Lfunc_end2-_ZN4vllm18act_and_mul_kernelIN3c108BFloat16ETnPFT_RKS3_EXadL_ZNS_11silu_kernelIS2_EES3_S5_EELb1EEEvPS3_PS4_i
                                        ; -- End function
	.section	.AMDGPU.csdata,"",@progbits
; Kernel info:
; codeLenInByte = 2728
; NumSgprs: 30
; NumVgprs: 51
; NumAgprs: 0
; TotalNumVgprs: 51
; ScratchSize: 0
; MemoryBound: 0
; FloatMode: 240
; IeeeMode: 1
; LDSByteSize: 0 bytes/workgroup (compile time only)
; SGPRBlocks: 3
; VGPRBlocks: 6
; NumSGPRsForWavesPerEU: 30
; NumVGPRsForWavesPerEU: 51
; AccumOffset: 52
; Occupancy: 8
; WaveLimiterHint : 0
; COMPUTE_PGM_RSRC2:SCRATCH_EN: 0
; COMPUTE_PGM_RSRC2:USER_SGPR: 6
; COMPUTE_PGM_RSRC2:TRAP_HANDLER: 0
; COMPUTE_PGM_RSRC2:TGID_X_EN: 1
; COMPUTE_PGM_RSRC2:TGID_Y_EN: 0
; COMPUTE_PGM_RSRC2:TGID_Z_EN: 0
; COMPUTE_PGM_RSRC2:TIDIG_COMP_CNT: 0
; COMPUTE_PGM_RSRC3_GFX90A:ACCUM_OFFSET: 12
; COMPUTE_PGM_RSRC3_GFX90A:TG_SPLIT: 0
	.section	.text._ZN4vllm18act_and_mul_kernelIfTnPFT_RKS1_EXadL_ZNS_11silu_kernelIfEES1_S3_EELb0EEEvPS1_PS2_i,"axG",@progbits,_ZN4vllm18act_and_mul_kernelIfTnPFT_RKS1_EXadL_ZNS_11silu_kernelIfEES1_S3_EELb0EEEvPS1_PS2_i,comdat
	.protected	_ZN4vllm18act_and_mul_kernelIfTnPFT_RKS1_EXadL_ZNS_11silu_kernelIfEES1_S3_EELb0EEEvPS1_PS2_i ; -- Begin function _ZN4vllm18act_and_mul_kernelIfTnPFT_RKS1_EXadL_ZNS_11silu_kernelIfEES1_S3_EELb0EEEvPS1_PS2_i
	.globl	_ZN4vllm18act_and_mul_kernelIfTnPFT_RKS1_EXadL_ZNS_11silu_kernelIfEES1_S3_EELb0EEEvPS1_PS2_i
	.p2align	8
	.type	_ZN4vllm18act_and_mul_kernelIfTnPFT_RKS1_EXadL_ZNS_11silu_kernelIfEES1_S3_EELb0EEEvPS1_PS2_i,@function
_ZN4vllm18act_and_mul_kernelIfTnPFT_RKS1_EXadL_ZNS_11silu_kernelIfEES1_S3_EELb0EEEvPS1_PS2_i: ; @_ZN4vllm18act_and_mul_kernelIfTnPFT_RKS1_EXadL_ZNS_11silu_kernelIfEES1_S3_EELb0EEEvPS1_PS2_i
; %bb.0:
	s_load_dword s2, s[4:5], 0x10
	s_waitcnt lgkmcnt(0)
	v_cmp_gt_i32_e32 vcc, s2, v0
	s_and_saveexec_b64 s[0:1], vcc
	s_cbranch_execz .LBB3_12
; %bb.1:
	s_load_dword s0, s[4:5], 0x24
	s_load_dwordx4 s[8:11], s[4:5], 0x0
	s_ashr_i32 s3, s2, 31
	v_mov_b32_e32 v2, s3
	v_mov_b32_e32 v1, 0
	s_waitcnt lgkmcnt(0)
	s_and_b32 s12, s0, 0xffff
	v_add_co_u32_e32 v4, vcc, s12, v0
	v_addc_co_u32_e64 v5, s[0:1], 0, 0, vcc
	v_cmp_lt_i64_e32 vcc, s[2:3], v[4:5]
	v_cndmask_b32_e32 v6, v2, v5, vcc
	v_mov_b32_e32 v2, s2
	v_cndmask_b32_e32 v3, v2, v4, vcc
	v_cmp_gt_i64_e32 vcc, s[2:3], v[4:5]
	v_cndmask_b32_e64 v2, 0, 1, vcc
	v_add_co_u32_e32 v4, vcc, v4, v2
	v_addc_co_u32_e32 v5, vcc, 0, v5, vcc
	v_sub_co_u32_e32 v3, vcc, v3, v4
	v_subb_co_u32_e32 v5, vcc, v6, v5, vcc
	v_mov_b32_e32 v4, v1
	s_mov_b32 s13, 0
	v_cmp_ne_u64_e32 vcc, 0, v[4:5]
                                        ; implicit-def: $vgpr6_vgpr7
	s_and_saveexec_b64 s[0:1], vcc
	s_xor_b64 s[4:5], exec, s[0:1]
	s_cbranch_execz .LBB3_3
; %bb.2:
	v_cvt_f32_u32_e32 v4, s12
	v_mov_b32_e32 v6, 0x4f800000
	s_sub_u32 s0, 0, s12
	s_subb_u32 s1, 0, 0
	v_mac_f32_e32 v4, 0, v6
	v_rcp_f32_e32 v4, v4
	v_mul_f32_e32 v4, 0x5f7ffffc, v4
	v_mul_f32_e32 v6, 0x2f800000, v4
	v_trunc_f32_e32 v6, v6
	v_madmk_f32 v4, v6, 0xcf800000, v4
	v_cvt_u32_f32_e32 v6, v6
	v_cvt_u32_f32_e32 v4, v4
	v_mul_lo_u32 v7, s0, v6
	v_mul_hi_u32 v9, s0, v4
	v_mul_lo_u32 v8, s1, v4
	v_add_u32_e32 v7, v9, v7
	v_mul_lo_u32 v10, s0, v4
	v_add_u32_e32 v7, v7, v8
	v_mul_hi_u32 v9, v4, v10
	v_mul_lo_u32 v11, v4, v7
	v_mul_hi_u32 v8, v4, v7
	v_add_co_u32_e32 v9, vcc, v9, v11
	v_addc_co_u32_e32 v8, vcc, 0, v8, vcc
	v_mul_hi_u32 v12, v6, v10
	v_mul_lo_u32 v10, v6, v10
	v_add_co_u32_e32 v9, vcc, v9, v10
	v_mul_hi_u32 v11, v6, v7
	v_addc_co_u32_e32 v8, vcc, v8, v12, vcc
	v_addc_co_u32_e32 v9, vcc, 0, v11, vcc
	v_mul_lo_u32 v7, v6, v7
	v_add_co_u32_e32 v7, vcc, v8, v7
	v_addc_co_u32_e32 v8, vcc, 0, v9, vcc
	v_add_co_u32_e32 v4, vcc, v4, v7
	v_addc_co_u32_e32 v6, vcc, v6, v8, vcc
	v_mul_lo_u32 v7, s0, v6
	v_mul_hi_u32 v8, s0, v4
	v_add_u32_e32 v7, v8, v7
	v_mul_lo_u32 v8, s1, v4
	v_add_u32_e32 v7, v7, v8
	v_mul_lo_u32 v9, s0, v4
	v_mul_hi_u32 v10, v6, v9
	v_mul_lo_u32 v11, v6, v9
	v_mul_lo_u32 v13, v4, v7
	v_mul_hi_u32 v9, v4, v9
	v_mul_hi_u32 v12, v4, v7
	v_add_co_u32_e32 v9, vcc, v9, v13
	v_addc_co_u32_e32 v12, vcc, 0, v12, vcc
	v_add_co_u32_e32 v9, vcc, v9, v11
	v_mul_hi_u32 v8, v6, v7
	v_addc_co_u32_e32 v9, vcc, v12, v10, vcc
	v_addc_co_u32_e32 v8, vcc, 0, v8, vcc
	v_mul_lo_u32 v7, v6, v7
	v_add_co_u32_e32 v7, vcc, v9, v7
	v_addc_co_u32_e32 v8, vcc, 0, v8, vcc
	v_add_co_u32_e32 v4, vcc, v4, v7
	v_addc_co_u32_e32 v8, vcc, v6, v8, vcc
	v_mad_u64_u32 v[6:7], s[0:1], v3, v8, 0
	v_mul_hi_u32 v9, v3, v4
	v_add_co_u32_e32 v10, vcc, v9, v6
	v_addc_co_u32_e32 v11, vcc, 0, v7, vcc
	v_mad_u64_u32 v[6:7], s[0:1], v5, v8, 0
	v_mad_u64_u32 v[8:9], s[0:1], v5, v4, 0
	v_add_co_u32_e32 v4, vcc, v10, v8
	v_addc_co_u32_e32 v4, vcc, v11, v9, vcc
	v_addc_co_u32_e32 v7, vcc, 0, v7, vcc
	v_add_co_u32_e32 v10, vcc, v4, v6
	v_addc_co_u32_e32 v11, vcc, 0, v7, vcc
	v_mad_u64_u32 v[6:7], s[0:1], s12, v10, 0
	v_mov_b32_e32 v4, v7
	v_mad_u64_u32 v[8:9], s[0:1], s12, v11, v[4:5]
	v_sub_co_u32_e32 v3, vcc, v3, v6
	v_subb_co_u32_e32 v4, vcc, v5, v8, vcc
	v_subrev_co_u32_e32 v5, vcc, s12, v3
	v_subbrev_co_u32_e32 v6, vcc, 0, v4, vcc
	v_cmp_le_u32_e32 vcc, s12, v5
	v_cndmask_b32_e64 v5, 0, -1, vcc
	v_cmp_eq_u32_e32 vcc, 0, v6
	v_cndmask_b32_e32 v5, -1, v5, vcc
	v_add_co_u32_e32 v6, vcc, 2, v10
	v_addc_co_u32_e32 v7, vcc, 0, v11, vcc
	v_add_co_u32_e32 v8, vcc, 1, v10
	v_cmp_le_u32_e64 s[0:1], s12, v3
	v_addc_co_u32_e32 v9, vcc, 0, v11, vcc
	v_cndmask_b32_e64 v3, 0, -1, s[0:1]
	v_cmp_eq_u32_e64 s[0:1], 0, v4
	v_cmp_ne_u32_e32 vcc, 0, v5
	v_cndmask_b32_e64 v3, -1, v3, s[0:1]
	v_cndmask_b32_e32 v5, v9, v7, vcc
	v_cmp_ne_u32_e64 s[0:1], 0, v3
	v_cndmask_b32_e32 v3, v8, v6, vcc
	v_cndmask_b32_e64 v7, v11, v5, s[0:1]
	v_cndmask_b32_e64 v6, v10, v3, s[0:1]
                                        ; implicit-def: $vgpr3
.LBB3_3:
	s_andn2_saveexec_b64 s[0:1], s[4:5]
	s_cbranch_execz .LBB3_5
; %bb.4:
	v_cvt_f32_u32_e32 v4, s12
	s_sub_i32 s4, 0, s12
	v_mov_b32_e32 v7, 0
	v_rcp_iflag_f32_e32 v4, v4
	v_mul_f32_e32 v4, 0x4f7ffffe, v4
	v_cvt_u32_f32_e32 v4, v4
	v_mul_lo_u32 v5, s4, v4
	v_mul_hi_u32 v5, v4, v5
	v_add_u32_e32 v4, v4, v5
	v_mul_hi_u32 v4, v3, v4
	v_mul_lo_u32 v5, v4, s12
	v_sub_u32_e32 v3, v3, v5
	v_add_u32_e32 v6, 1, v4
	v_subrev_u32_e32 v5, s12, v3
	v_cmp_le_u32_e32 vcc, s12, v3
	v_cndmask_b32_e32 v3, v3, v5, vcc
	v_cndmask_b32_e32 v4, v4, v6, vcc
	v_add_u32_e32 v5, 1, v4
	v_cmp_le_u32_e32 vcc, s12, v3
	v_cndmask_b32_e32 v6, v4, v5, vcc
.LBB3_5:
	s_or_b64 exec, exec, s[0:1]
	s_mul_i32 s0, s6, s3
	s_mul_hi_u32 s1, s6, s2
	s_add_i32 s1, s1, s0
	s_mul_i32 s0, s6, s2
	s_lshl_b64 s[4:5], s[0:1], 3
	s_add_u32 s10, s10, s4
	s_addc_u32 s14, s11, s5
	s_lshl_b64 s[4:5], s[2:3], 2
	v_add_co_u32_e32 v2, vcc, v6, v2
	s_add_u32 s11, s10, s4
	v_addc_co_u32_e32 v3, vcc, 0, v7, vcc
	s_addc_u32 s15, s14, s5
	s_lshl_b64 s[0:1], s[0:1], 2
	v_add_co_u32_e32 v2, vcc, 1, v2
	s_add_u32 s8, s8, s0
	v_addc_co_u32_e32 v3, vcc, 0, v3, vcc
	s_addc_u32 s9, s9, s1
	v_cmp_lt_u64_e32 vcc, 1, v[2:3]
	v_cmp_eq_u16_e64 s[0:1], s12, 1
	s_and_b64 s[6:7], vcc, s[0:1]
	s_mov_b64 s[0:1], -1
	s_and_saveexec_b64 s[4:5], s[6:7]
	s_cbranch_execz .LBB3_9
; %bb.6:
	v_and_b32_e32 v4, -2, v2
	v_mov_b32_e32 v5, v3
	s_mov_b32 s0, 0
	v_lshlrev_b32_e32 v6, 2, v0
	v_mov_b32_e32 v7, 0
	s_lshl_b32 s16, s12, 3
	s_mov_b64 s[6:7], 0
	v_mov_b32_e32 v14, s14
	v_mov_b32_e32 v15, s15
	s_mov_b32 s17, 0xbfb8aa3b
	s_mov_b32 s18, 0x42ce8ed0
	;; [unrolled: 1-line block ×3, first 2 shown]
	v_mov_b32_e32 v16, 0x7f800000
	v_mov_b32_e32 v17, s9
	;; [unrolled: 1-line block ×3, first 2 shown]
	v_pk_mov_b32 v[8:9], v[4:5], v[4:5] op_sel:[0,1]
.LBB3_7:                                ; =>This Inner Loop Header: Depth=1
	v_add_co_u32_e32 v20, vcc, s10, v6
	v_addc_co_u32_e32 v21, vcc, v14, v7, vcc
	v_add_co_u32_e32 v22, vcc, s11, v6
	v_addc_co_u32_e32 v23, vcc, v15, v7, vcc
	global_load_dwordx2 v[12:13], v[22:23], off
	global_load_dwordx2 v[10:11], v[20:21], off
	v_add_co_u32_e32 v20, vcc, s8, v6
	v_addc_co_u32_e32 v21, vcc, v17, v7, vcc
	v_add_co_u32_e32 v8, vcc, -2, v8
	v_addc_co_u32_e32 v9, vcc, -1, v9, vcc
	v_add_co_u32_e32 v6, vcc, s16, v6
	v_addc_co_u32_e32 v7, vcc, v7, v18, vcc
	v_cmp_eq_u64_e32 vcc, 0, v[8:9]
	s_or_b64 s[6:7], vcc, s[6:7]
	s_waitcnt vmcnt(1)
	v_mul_f32_e32 v19, 0xbfb8aa3b, v13
	v_mul_f32_e32 v22, 0xbfb8aa3b, v12
	v_fma_f32 v23, v13, s17, -v19
	v_rndne_f32_e32 v24, v19
	v_fma_f32 v25, v12, s17, -v22
	v_rndne_f32_e32 v26, v22
	v_fmac_f32_e32 v23, 0xb2a5705f, v13
	v_sub_f32_e32 v19, v19, v24
	v_fmac_f32_e32 v25, 0xb2a5705f, v12
	v_sub_f32_e32 v22, v22, v26
	v_add_f32_e32 v19, v19, v23
	v_add_f32_e32 v22, v22, v25
	v_cvt_i32_f32_e32 v24, v24
	v_cvt_i32_f32_e32 v26, v26
	v_exp_f32_e32 v19, v19
	v_exp_f32_e32 v22, v22
	v_cmp_nlt_f32_e32 vcc, s18, v12
	v_cmp_nlt_f32_e64 s[0:1], s18, v13
	v_ldexp_f32 v19, v19, v24
	v_ldexp_f32 v22, v22, v26
	v_cndmask_b32_e64 v19, 0, v19, s[0:1]
	v_cndmask_b32_e32 v22, 0, v22, vcc
	v_cmp_ngt_f32_e32 vcc, s19, v12
	v_cmp_ngt_f32_e64 s[0:1], s19, v13
	v_cndmask_b32_e64 v23, v16, v19, s[0:1]
	v_cndmask_b32_e32 v22, v16, v22, vcc
	v_pk_add_f32 v[22:23], v[22:23], 1.0 op_sel_hi:[1,0]
	v_div_scale_f32 v19, s[0:1], v23, v23, v13
	v_div_scale_f32 v25, s[0:1], v22, v22, v12
	v_rcp_f32_e32 v27, v19
	v_rcp_f32_e32 v28, v25
	v_div_scale_f32 v24, vcc, v13, v23, v13
	v_fma_f32 v29, -v19, v27, 1.0
	v_fma_f32 v30, -v25, v28, 1.0
	v_fmac_f32_e32 v27, v29, v27
	v_div_scale_f32 v26, s[0:1], v12, v22, v12
	v_fmac_f32_e32 v28, v30, v28
	v_mul_f32_e32 v29, v24, v27
	v_mul_f32_e32 v30, v26, v28
	v_fma_f32 v31, -v19, v29, v24
	v_fma_f32 v32, -v25, v30, v26
	v_fmac_f32_e32 v29, v31, v27
	v_fmac_f32_e32 v30, v32, v28
	v_fma_f32 v19, -v19, v29, v24
	v_fma_f32 v24, -v25, v30, v26
	v_div_fmas_f32 v19, v19, v27, v29
	s_mov_b64 vcc, s[0:1]
	v_div_fixup_f32 v13, v19, v23, v13
	v_div_fmas_f32 v19, v24, v28, v30
	v_div_fixup_f32 v12, v19, v22, v12
	s_waitcnt vmcnt(0)
	v_pk_mul_f32 v[10:11], v[10:11], v[12:13]
	global_store_dwordx2 v[20:21], v[10:11], off
	s_andn2_b64 exec, exec, s[6:7]
	s_cbranch_execnz .LBB3_7
; %bb.8:
	s_or_b64 exec, exec, s[6:7]
	v_mad_u64_u32 v[0:1], s[0:1], v4, s12, v[0:1]
	v_mov_b32_e32 v6, v1
	v_mad_u64_u32 v[6:7], s[0:1], v5, s12, v[6:7]
	v_cmp_ne_u64_e32 vcc, v[2:3], v[4:5]
	v_mov_b32_e32 v1, v6
	s_orn2_b64 s[0:1], vcc, exec
.LBB3_9:
	s_or_b64 exec, exec, s[4:5]
	s_and_b64 exec, exec, s[0:1]
	s_cbranch_execz .LBB3_12
; %bb.10:
	s_mov_b32 s16, 0
	v_lshlrev_b64 v[2:3], 2, v[0:1]
	s_lshl_b32 s4, s12, 2
	s_mov_b64 s[0:1], 0
	v_mov_b32_e32 v4, s14
	v_mov_b32_e32 v5, s15
	s_mov_b32 s5, 0xbfb8aa3b
	s_mov_b32 s6, 0x42ce8ed0
	;; [unrolled: 1-line block ×3, first 2 shown]
	v_mov_b32_e32 v6, 0x7f800000
	v_mov_b32_e32 v7, s9
	;; [unrolled: 1-line block ×4, first 2 shown]
.LBB3_11:                               ; =>This Inner Loop Header: Depth=1
	v_add_co_u32_e32 v10, vcc, s10, v2
	v_addc_co_u32_e32 v11, vcc, v4, v3, vcc
	v_add_co_u32_e32 v12, vcc, s11, v2
	v_addc_co_u32_e32 v13, vcc, v5, v3, vcc
	global_load_dword v14, v[12:13], off
	global_load_dword v15, v[10:11], off
	v_add_co_u32_e32 v10, vcc, s8, v2
	v_addc_co_u32_e32 v11, vcc, v7, v3, vcc
	v_add_co_u32_e32 v0, vcc, s12, v0
	v_addc_co_u32_e32 v1, vcc, v1, v8, vcc
	;; [unrolled: 2-line block ×3, first 2 shown]
	v_cmp_le_i64_e32 vcc, s[2:3], v[0:1]
	s_or_b64 s[0:1], vcc, s[0:1]
	s_waitcnt vmcnt(1)
	v_mul_f32_e32 v12, 0xbfb8aa3b, v14
	v_fma_f32 v13, v14, s5, -v12
	v_rndne_f32_e32 v16, v12
	v_fmac_f32_e32 v13, 0xb2a5705f, v14
	v_sub_f32_e32 v12, v12, v16
	v_add_f32_e32 v12, v12, v13
	v_cvt_i32_f32_e32 v16, v16
	v_exp_f32_e32 v12, v12
	v_cmp_nlt_f32_e32 vcc, s6, v14
	v_ldexp_f32 v12, v12, v16
	v_cndmask_b32_e32 v12, 0, v12, vcc
	v_cmp_ngt_f32_e32 vcc, s7, v14
	v_cndmask_b32_e32 v12, v6, v12, vcc
	v_add_f32_e32 v12, 1.0, v12
	v_div_scale_f32 v13, s[14:15], v12, v12, v14
	v_rcp_f32_e32 v16, v13
	v_div_scale_f32 v17, vcc, v14, v12, v14
	v_fma_f32 v18, -v13, v16, 1.0
	v_fmac_f32_e32 v16, v18, v16
	v_mul_f32_e32 v18, v17, v16
	v_fma_f32 v19, -v13, v18, v17
	v_fmac_f32_e32 v18, v19, v16
	v_fma_f32 v13, -v13, v18, v17
	v_div_fmas_f32 v13, v13, v16, v18
	v_div_fixup_f32 v12, v13, v12, v14
	s_waitcnt vmcnt(0)
	v_mul_f32_e32 v12, v15, v12
	global_store_dword v[10:11], v12, off
	s_andn2_b64 exec, exec, s[0:1]
	s_cbranch_execnz .LBB3_11
.LBB3_12:
	s_endpgm
	.section	.rodata,"a",@progbits
	.p2align	6, 0x0
	.amdhsa_kernel _ZN4vllm18act_and_mul_kernelIfTnPFT_RKS1_EXadL_ZNS_11silu_kernelIfEES1_S3_EELb0EEEvPS1_PS2_i
		.amdhsa_group_segment_fixed_size 0
		.amdhsa_private_segment_fixed_size 0
		.amdhsa_kernarg_size 280
		.amdhsa_user_sgpr_count 6
		.amdhsa_user_sgpr_private_segment_buffer 1
		.amdhsa_user_sgpr_dispatch_ptr 0
		.amdhsa_user_sgpr_queue_ptr 0
		.amdhsa_user_sgpr_kernarg_segment_ptr 1
		.amdhsa_user_sgpr_dispatch_id 0
		.amdhsa_user_sgpr_flat_scratch_init 0
		.amdhsa_user_sgpr_kernarg_preload_length 0
		.amdhsa_user_sgpr_kernarg_preload_offset 0
		.amdhsa_user_sgpr_private_segment_size 0
		.amdhsa_uses_dynamic_stack 0
		.amdhsa_system_sgpr_private_segment_wavefront_offset 0
		.amdhsa_system_sgpr_workgroup_id_x 1
		.amdhsa_system_sgpr_workgroup_id_y 0
		.amdhsa_system_sgpr_workgroup_id_z 0
		.amdhsa_system_sgpr_workgroup_info 0
		.amdhsa_system_vgpr_workitem_id 0
		.amdhsa_next_free_vgpr 33
		.amdhsa_next_free_sgpr 20
		.amdhsa_accum_offset 36
		.amdhsa_reserve_vcc 1
		.amdhsa_reserve_flat_scratch 0
		.amdhsa_float_round_mode_32 0
		.amdhsa_float_round_mode_16_64 0
		.amdhsa_float_denorm_mode_32 3
		.amdhsa_float_denorm_mode_16_64 3
		.amdhsa_dx10_clamp 1
		.amdhsa_ieee_mode 1
		.amdhsa_fp16_overflow 0
		.amdhsa_tg_split 0
		.amdhsa_exception_fp_ieee_invalid_op 0
		.amdhsa_exception_fp_denorm_src 0
		.amdhsa_exception_fp_ieee_div_zero 0
		.amdhsa_exception_fp_ieee_overflow 0
		.amdhsa_exception_fp_ieee_underflow 0
		.amdhsa_exception_fp_ieee_inexact 0
		.amdhsa_exception_int_div_zero 0
	.end_amdhsa_kernel
	.section	.text._ZN4vllm18act_and_mul_kernelIfTnPFT_RKS1_EXadL_ZNS_11silu_kernelIfEES1_S3_EELb0EEEvPS1_PS2_i,"axG",@progbits,_ZN4vllm18act_and_mul_kernelIfTnPFT_RKS1_EXadL_ZNS_11silu_kernelIfEES1_S3_EELb0EEEvPS1_PS2_i,comdat
.Lfunc_end3:
	.size	_ZN4vllm18act_and_mul_kernelIfTnPFT_RKS1_EXadL_ZNS_11silu_kernelIfEES1_S3_EELb0EEEvPS1_PS2_i, .Lfunc_end3-_ZN4vllm18act_and_mul_kernelIfTnPFT_RKS1_EXadL_ZNS_11silu_kernelIfEES1_S3_EELb0EEEvPS1_PS2_i
                                        ; -- End function
	.section	.AMDGPU.csdata,"",@progbits
; Kernel info:
; codeLenInByte = 1732
; NumSgprs: 24
; NumVgprs: 33
; NumAgprs: 0
; TotalNumVgprs: 33
; ScratchSize: 0
; MemoryBound: 0
; FloatMode: 240
; IeeeMode: 1
; LDSByteSize: 0 bytes/workgroup (compile time only)
; SGPRBlocks: 2
; VGPRBlocks: 4
; NumSGPRsForWavesPerEU: 24
; NumVGPRsForWavesPerEU: 33
; AccumOffset: 36
; Occupancy: 8
; WaveLimiterHint : 0
; COMPUTE_PGM_RSRC2:SCRATCH_EN: 0
; COMPUTE_PGM_RSRC2:USER_SGPR: 6
; COMPUTE_PGM_RSRC2:TRAP_HANDLER: 0
; COMPUTE_PGM_RSRC2:TGID_X_EN: 1
; COMPUTE_PGM_RSRC2:TGID_Y_EN: 0
; COMPUTE_PGM_RSRC2:TGID_Z_EN: 0
; COMPUTE_PGM_RSRC2:TIDIG_COMP_CNT: 0
; COMPUTE_PGM_RSRC3_GFX90A:ACCUM_OFFSET: 8
; COMPUTE_PGM_RSRC3_GFX90A:TG_SPLIT: 0
	.section	.text._ZN4vllm18act_and_mul_kernelIN3c104HalfETnPFT_RKS3_EXadL_ZNS_11silu_kernelIS2_EES3_S5_EELb0EEEvPS3_PS4_i,"axG",@progbits,_ZN4vllm18act_and_mul_kernelIN3c104HalfETnPFT_RKS3_EXadL_ZNS_11silu_kernelIS2_EES3_S5_EELb0EEEvPS3_PS4_i,comdat
	.protected	_ZN4vllm18act_and_mul_kernelIN3c104HalfETnPFT_RKS3_EXadL_ZNS_11silu_kernelIS2_EES3_S5_EELb0EEEvPS3_PS4_i ; -- Begin function _ZN4vllm18act_and_mul_kernelIN3c104HalfETnPFT_RKS3_EXadL_ZNS_11silu_kernelIS2_EES3_S5_EELb0EEEvPS3_PS4_i
	.globl	_ZN4vllm18act_and_mul_kernelIN3c104HalfETnPFT_RKS3_EXadL_ZNS_11silu_kernelIS2_EES3_S5_EELb0EEEvPS3_PS4_i
	.p2align	8
	.type	_ZN4vllm18act_and_mul_kernelIN3c104HalfETnPFT_RKS3_EXadL_ZNS_11silu_kernelIS2_EES3_S5_EELb0EEEvPS3_PS4_i,@function
_ZN4vllm18act_and_mul_kernelIN3c104HalfETnPFT_RKS3_EXadL_ZNS_11silu_kernelIS2_EES3_S5_EELb0EEEvPS3_PS4_i: ; @_ZN4vllm18act_and_mul_kernelIN3c104HalfETnPFT_RKS3_EXadL_ZNS_11silu_kernelIS2_EES3_S5_EELb0EEEvPS3_PS4_i
; %bb.0:
	s_load_dword s12, s[4:5], 0x10
	s_waitcnt lgkmcnt(0)
	v_cmp_gt_i32_e32 vcc, s12, v0
	s_and_saveexec_b64 s[0:1], vcc
	s_cbranch_execz .LBB4_12
; %bb.1:
	s_load_dword s0, s[4:5], 0x24
	s_load_dwordx4 s[8:11], s[4:5], 0x0
	s_ashr_i32 s13, s12, 31
	v_mov_b32_e32 v2, s13
	v_mov_b32_e32 v1, 0
	s_waitcnt lgkmcnt(0)
	s_and_b32 s14, s0, 0xffff
	v_add_co_u32_e32 v4, vcc, s14, v0
	v_addc_co_u32_e64 v5, s[0:1], 0, 0, vcc
	v_cmp_lt_i64_e32 vcc, s[12:13], v[4:5]
	v_cndmask_b32_e32 v6, v2, v5, vcc
	v_mov_b32_e32 v2, s12
	v_cndmask_b32_e32 v3, v2, v4, vcc
	v_cmp_gt_i64_e32 vcc, s[12:13], v[4:5]
	v_cndmask_b32_e64 v2, 0, 1, vcc
	v_add_co_u32_e32 v4, vcc, v4, v2
	v_addc_co_u32_e32 v5, vcc, 0, v5, vcc
	v_sub_co_u32_e32 v3, vcc, v3, v4
	v_subb_co_u32_e32 v5, vcc, v6, v5, vcc
	v_mov_b32_e32 v4, v1
	s_mov_b32 s15, 0
	v_cmp_ne_u64_e32 vcc, 0, v[4:5]
                                        ; implicit-def: $vgpr6_vgpr7
	s_and_saveexec_b64 s[0:1], vcc
	s_xor_b64 s[2:3], exec, s[0:1]
	s_cbranch_execz .LBB4_3
; %bb.2:
	v_cvt_f32_u32_e32 v4, s14
	v_mov_b32_e32 v6, 0x4f800000
	s_sub_u32 s0, 0, s14
	s_subb_u32 s1, 0, 0
	v_mac_f32_e32 v4, 0, v6
	v_rcp_f32_e32 v4, v4
	v_mul_f32_e32 v4, 0x5f7ffffc, v4
	v_mul_f32_e32 v6, 0x2f800000, v4
	v_trunc_f32_e32 v6, v6
	v_madmk_f32 v4, v6, 0xcf800000, v4
	v_cvt_u32_f32_e32 v6, v6
	v_cvt_u32_f32_e32 v4, v4
	v_mul_lo_u32 v7, s0, v6
	v_mul_hi_u32 v9, s0, v4
	v_mul_lo_u32 v8, s1, v4
	v_add_u32_e32 v7, v9, v7
	v_mul_lo_u32 v10, s0, v4
	v_add_u32_e32 v7, v7, v8
	v_mul_hi_u32 v9, v4, v10
	v_mul_lo_u32 v11, v4, v7
	v_mul_hi_u32 v8, v4, v7
	v_add_co_u32_e32 v9, vcc, v9, v11
	v_addc_co_u32_e32 v8, vcc, 0, v8, vcc
	v_mul_hi_u32 v12, v6, v10
	v_mul_lo_u32 v10, v6, v10
	v_add_co_u32_e32 v9, vcc, v9, v10
	v_mul_hi_u32 v11, v6, v7
	v_addc_co_u32_e32 v8, vcc, v8, v12, vcc
	v_addc_co_u32_e32 v9, vcc, 0, v11, vcc
	v_mul_lo_u32 v7, v6, v7
	v_add_co_u32_e32 v7, vcc, v8, v7
	v_addc_co_u32_e32 v8, vcc, 0, v9, vcc
	v_add_co_u32_e32 v4, vcc, v4, v7
	v_addc_co_u32_e32 v6, vcc, v6, v8, vcc
	v_mul_lo_u32 v7, s0, v6
	v_mul_hi_u32 v8, s0, v4
	v_add_u32_e32 v7, v8, v7
	v_mul_lo_u32 v8, s1, v4
	v_add_u32_e32 v7, v7, v8
	v_mul_lo_u32 v9, s0, v4
	v_mul_hi_u32 v10, v6, v9
	v_mul_lo_u32 v11, v6, v9
	v_mul_lo_u32 v13, v4, v7
	v_mul_hi_u32 v9, v4, v9
	v_mul_hi_u32 v12, v4, v7
	v_add_co_u32_e32 v9, vcc, v9, v13
	v_addc_co_u32_e32 v12, vcc, 0, v12, vcc
	v_add_co_u32_e32 v9, vcc, v9, v11
	v_mul_hi_u32 v8, v6, v7
	v_addc_co_u32_e32 v9, vcc, v12, v10, vcc
	v_addc_co_u32_e32 v8, vcc, 0, v8, vcc
	v_mul_lo_u32 v7, v6, v7
	v_add_co_u32_e32 v7, vcc, v9, v7
	v_addc_co_u32_e32 v8, vcc, 0, v8, vcc
	v_add_co_u32_e32 v4, vcc, v4, v7
	v_addc_co_u32_e32 v8, vcc, v6, v8, vcc
	v_mad_u64_u32 v[6:7], s[0:1], v3, v8, 0
	v_mul_hi_u32 v9, v3, v4
	v_add_co_u32_e32 v10, vcc, v9, v6
	v_addc_co_u32_e32 v11, vcc, 0, v7, vcc
	v_mad_u64_u32 v[6:7], s[0:1], v5, v8, 0
	v_mad_u64_u32 v[8:9], s[0:1], v5, v4, 0
	v_add_co_u32_e32 v4, vcc, v10, v8
	v_addc_co_u32_e32 v4, vcc, v11, v9, vcc
	v_addc_co_u32_e32 v7, vcc, 0, v7, vcc
	v_add_co_u32_e32 v10, vcc, v4, v6
	v_addc_co_u32_e32 v11, vcc, 0, v7, vcc
	v_mad_u64_u32 v[6:7], s[0:1], s14, v10, 0
	v_mov_b32_e32 v4, v7
	v_mad_u64_u32 v[8:9], s[0:1], s14, v11, v[4:5]
	v_sub_co_u32_e32 v3, vcc, v3, v6
	v_subb_co_u32_e32 v4, vcc, v5, v8, vcc
	v_subrev_co_u32_e32 v5, vcc, s14, v3
	v_subbrev_co_u32_e32 v6, vcc, 0, v4, vcc
	v_cmp_le_u32_e32 vcc, s14, v5
	v_cndmask_b32_e64 v5, 0, -1, vcc
	v_cmp_eq_u32_e32 vcc, 0, v6
	v_cndmask_b32_e32 v5, -1, v5, vcc
	v_add_co_u32_e32 v6, vcc, 2, v10
	v_addc_co_u32_e32 v7, vcc, 0, v11, vcc
	v_add_co_u32_e32 v8, vcc, 1, v10
	v_cmp_le_u32_e64 s[0:1], s14, v3
	v_addc_co_u32_e32 v9, vcc, 0, v11, vcc
	v_cndmask_b32_e64 v3, 0, -1, s[0:1]
	v_cmp_eq_u32_e64 s[0:1], 0, v4
	v_cmp_ne_u32_e32 vcc, 0, v5
	v_cndmask_b32_e64 v3, -1, v3, s[0:1]
	v_cndmask_b32_e32 v5, v9, v7, vcc
	v_cmp_ne_u32_e64 s[0:1], 0, v3
	v_cndmask_b32_e32 v3, v8, v6, vcc
	v_cndmask_b32_e64 v7, v11, v5, s[0:1]
	v_cndmask_b32_e64 v6, v10, v3, s[0:1]
                                        ; implicit-def: $vgpr3
.LBB4_3:
	s_andn2_saveexec_b64 s[0:1], s[2:3]
	s_cbranch_execz .LBB4_5
; %bb.4:
	v_cvt_f32_u32_e32 v4, s14
	s_sub_i32 s2, 0, s14
	v_mov_b32_e32 v7, 0
	v_rcp_iflag_f32_e32 v4, v4
	v_mul_f32_e32 v4, 0x4f7ffffe, v4
	v_cvt_u32_f32_e32 v4, v4
	v_mul_lo_u32 v5, s2, v4
	v_mul_hi_u32 v5, v4, v5
	v_add_u32_e32 v4, v4, v5
	v_mul_hi_u32 v4, v3, v4
	v_mul_lo_u32 v5, v4, s14
	v_sub_u32_e32 v3, v3, v5
	v_add_u32_e32 v6, 1, v4
	v_subrev_u32_e32 v5, s14, v3
	v_cmp_le_u32_e32 vcc, s14, v3
	v_cndmask_b32_e32 v3, v3, v5, vcc
	v_cndmask_b32_e32 v4, v4, v6, vcc
	v_add_u32_e32 v5, 1, v4
	v_cmp_le_u32_e32 vcc, s14, v3
	v_cndmask_b32_e32 v6, v4, v5, vcc
.LBB4_5:
	s_or_b64 exec, exec, s[0:1]
	s_mul_i32 s0, s6, s13
	s_mul_hi_u32 s1, s6, s12
	s_add_i32 s1, s1, s0
	s_mul_i32 s0, s6, s12
	s_lshl_b64 s[2:3], s[0:1], 2
	s_add_u32 s16, s10, s2
	s_addc_u32 s20, s11, s3
	s_lshl_b64 s[2:3], s[12:13], 1
	v_add_co_u32_e32 v2, vcc, v6, v2
	s_add_u32 s17, s16, s2
	v_addc_co_u32_e32 v3, vcc, 0, v7, vcc
	s_addc_u32 s21, s20, s3
	s_lshl_b64 s[0:1], s[0:1], 1
	v_add_co_u32_e32 v2, vcc, 1, v2
	s_add_u32 s18, s8, s0
	v_addc_co_u32_e32 v3, vcc, 0, v3, vcc
	s_addc_u32 s19, s9, s1
	v_cmp_lt_u64_e32 vcc, 3, v[2:3]
	v_cmp_eq_u16_e64 s[0:1], s14, 1
	s_and_b64 s[2:3], vcc, s[0:1]
	s_mov_b64 s[0:1], -1
	s_and_saveexec_b64 s[8:9], s[2:3]
	s_cbranch_execz .LBB4_9
; %bb.6:
	v_and_b32_e32 v4, -4, v2
	v_mov_b32_e32 v5, v3
	s_mov_b32 s0, 0
	v_lshlrev_b32_e32 v6, 1, v0
	v_mov_b32_e32 v7, 0
	s_lshl_b32 s22, s14, 3
	s_mov_b64 s[10:11], 0
	v_mov_b32_e32 v16, s20
	v_mov_b32_e32 v17, s21
	s_mov_b32 s23, 0x3fb8aa3b
	s_mov_b32 s24, 0x32a5705f
	;; [unrolled: 1-line block ×4, first 2 shown]
	v_mov_b32_e32 v18, 0x7f800000
	v_mov_b32_e32 v19, s19
	;; [unrolled: 1-line block ×3, first 2 shown]
	v_pk_mov_b32 v[8:9], v[4:5], v[4:5] op_sel:[0,1]
.LBB4_7:                                ; =>This Inner Loop Header: Depth=1
	v_add_co_u32_e32 v10, vcc, s16, v6
	v_addc_co_u32_e32 v11, vcc, v16, v7, vcc
	v_add_co_u32_e32 v12, vcc, s17, v6
	v_addc_co_u32_e32 v13, vcc, v17, v7, vcc
	global_load_dwordx2 v[22:23], v[12:13], off
	global_load_dwordx2 v[24:25], v[10:11], off
	v_add_co_u32_e32 v14, vcc, s18, v6
	v_addc_co_u32_e32 v15, vcc, v19, v7, vcc
	v_add_co_u32_e32 v8, vcc, -4, v8
	v_addc_co_u32_e32 v9, vcc, -1, v9, vcc
	v_add_co_u32_e32 v6, vcc, s22, v6
	v_addc_co_u32_e32 v7, vcc, v7, v20, vcc
	v_cmp_eq_u64_e64 s[0:1], 0, v[8:9]
	s_or_b64 s[10:11], s[0:1], s[10:11]
	s_waitcnt vmcnt(1)
	v_cvt_f32_f16_e64 v10, -v23
	v_cvt_f32_f16_sdwa v11, -v23 dst_sel:DWORD dst_unused:UNUSED_PAD src0_sel:WORD_1
	v_cvt_f32_f16_e64 v12, -v22
	v_cvt_f32_f16_sdwa v13, -v22 dst_sel:DWORD dst_unused:UNUSED_PAD src0_sel:WORD_1
	v_mul_f32_e32 v29, 0x3fb8aa3b, v10
	v_mul_f32_e32 v30, 0x3fb8aa3b, v11
	v_fma_mix_f32 v33, -v23, s23, -v29 op_sel_hi:[1,0,0]
	v_rndne_f32_e32 v34, v29
	v_fma_mix_f32 v35, -v23, s23, -v30 op_sel:[1,0,0] op_sel_hi:[1,0,0]
	v_rndne_f32_e32 v36, v30
	v_cvt_f32_f16_sdwa v27, v23 dst_sel:DWORD dst_unused:UNUSED_PAD src0_sel:WORD_1
	v_cvt_f32_f16_e32 v28, v23
	v_mul_f32_e32 v31, 0x3fb8aa3b, v12
	v_mul_f32_e32 v32, 0x3fb8aa3b, v13
	v_fma_mix_f32 v33, -v23, s24, v33 op_sel_hi:[1,0,0]
	v_sub_f32_e32 v29, v29, v34
	v_fma_mix_f32 v23, -v23, s24, v35 op_sel:[1,0,0] op_sel_hi:[1,0,0]
	v_sub_f32_e32 v30, v30, v36
	v_fma_mix_f32 v37, -v22, s23, -v31 op_sel_hi:[1,0,0]
	v_rndne_f32_e32 v38, v31
	v_fma_mix_f32 v39, -v22, s23, -v32 op_sel:[1,0,0] op_sel_hi:[1,0,0]
	v_rndne_f32_e32 v40, v32
	v_add_f32_e32 v29, v29, v33
	v_add_f32_e32 v23, v30, v23
	v_cvt_f32_f16_sdwa v21, v22 dst_sel:DWORD dst_unused:UNUSED_PAD src0_sel:WORD_1
	v_cvt_f32_f16_e32 v26, v22
	v_cvt_i32_f32_e32 v34, v34
	v_cvt_i32_f32_e32 v35, v36
	v_fma_mix_f32 v36, -v22, s24, v37 op_sel_hi:[1,0,0]
	v_sub_f32_e32 v31, v31, v38
	v_fma_mix_f32 v22, -v22, s24, v39 op_sel:[1,0,0] op_sel_hi:[1,0,0]
	v_sub_f32_e32 v32, v32, v40
	v_exp_f32_e32 v29, v29
	v_exp_f32_e32 v23, v23
	v_add_f32_e32 v30, v31, v36
	v_add_f32_e32 v22, v32, v22
	v_cvt_i32_f32_e32 v37, v38
	v_cvt_i32_f32_e32 v38, v40
	v_exp_f32_e32 v30, v30
	v_exp_f32_e32 v22, v22
	v_ldexp_f32 v29, v29, v34
	v_ldexp_f32 v23, v23, v35
	v_cmp_ngt_f32_e32 vcc, s25, v11
	v_cmp_ngt_f32_e64 s[6:7], s25, v10
	v_cndmask_b32_e64 v29, 0, v29, s[6:7]
	v_cndmask_b32_e32 v23, 0, v23, vcc
	v_cmp_nlt_f32_e32 vcc, s26, v11
	v_cmp_nlt_f32_e64 s[6:7], s26, v10
	v_ldexp_f32 v30, v30, v37
	v_cmp_ngt_f32_e64 s[2:3], s25, v12
	v_ldexp_f32 v22, v22, v38
	v_cmp_ngt_f32_e64 s[4:5], s25, v13
	v_cndmask_b32_e64 v10, v18, v29, s[6:7]
	v_cndmask_b32_e32 v11, v18, v23, vcc
	v_cndmask_b32_e64 v30, 0, v30, s[2:3]
	v_cmp_nlt_f32_e64 s[2:3], s26, v12
	v_cndmask_b32_e64 v22, 0, v22, s[4:5]
	v_cmp_nlt_f32_e64 s[4:5], s26, v13
	v_pk_add_f32 v[10:11], v[10:11], 1.0 op_sel_hi:[1,0]
	v_cndmask_b32_e64 v12, v18, v30, s[2:3]
	v_cndmask_b32_e64 v13, v18, v22, s[4:5]
	v_div_scale_f32 v22, s[2:3], v10, v10, v28
	v_pk_add_f32 v[12:13], v[12:13], 1.0 op_sel_hi:[1,0]
	v_div_scale_f32 v29, s[2:3], v11, v11, v27
	v_rcp_f32_e32 v35, v22
	v_div_scale_f32 v31, s[4:5], v12, v12, v26
	v_rcp_f32_e32 v36, v29
	;; [unrolled: 2-line block ×3, first 2 shown]
	v_rcp_f32_e32 v38, v33
	v_fma_f32 v39, -v22, v35, 1.0
	v_div_scale_f32 v23, vcc, v28, v10, v28
	v_fma_f32 v40, -v29, v36, 1.0
	v_fmac_f32_e32 v35, v39, v35
	v_div_scale_f32 v30, s[2:3], v27, v11, v27
	v_fma_f32 v41, -v31, v37, 1.0
	v_fmac_f32_e32 v36, v40, v36
	v_mul_f32_e32 v39, v23, v35
	v_div_scale_f32 v32, s[4:5], v26, v12, v26
	v_fma_f32 v42, -v33, v38, 1.0
	v_fmac_f32_e32 v37, v41, v37
	v_mul_f32_e32 v40, v30, v36
	v_fma_f32 v43, -v22, v39, v23
	v_div_scale_f32 v34, s[6:7], v21, v13, v21
	v_fmac_f32_e32 v38, v42, v38
	v_mul_f32_e32 v41, v32, v37
	v_fma_f32 v44, -v29, v40, v30
	v_fmac_f32_e32 v39, v43, v35
	v_mul_f32_e32 v42, v34, v38
	v_fma_f32 v45, -v31, v41, v32
	v_fmac_f32_e32 v40, v44, v36
	v_fma_f32 v22, -v22, v39, v23
	v_fma_f32 v46, -v33, v42, v34
	v_fmac_f32_e32 v41, v45, v37
	v_fma_f32 v23, -v29, v40, v30
	v_div_fmas_f32 v22, v22, v35, v39
	s_mov_b64 vcc, s[2:3]
	v_fmac_f32_e32 v42, v46, v38
	v_fma_f32 v29, -v31, v41, v32
	v_div_fixup_f32 v10, v22, v10, v28
	v_div_fmas_f32 v22, v23, v36, v40
	s_mov_b64 vcc, s[4:5]
	v_fma_f32 v30, -v33, v42, v34
	v_div_fixup_f32 v11, v22, v11, v27
	v_div_fmas_f32 v22, v29, v37, v41
	s_mov_b64 vcc, s[6:7]
	v_div_fixup_f32 v12, v22, v12, v26
	v_div_fmas_f32 v22, v30, v38, v42
	v_cvt_f16_f32_e32 v10, v10
	v_cvt_f16_f32_e32 v11, v11
	v_div_fixup_f32 v13, v22, v13, v21
	v_cvt_f16_f32_e32 v12, v12
	v_cvt_f16_f32_e32 v13, v13
	v_pack_b32_f16 v10, v10, v11
	s_waitcnt vmcnt(0)
	v_pk_mul_f16 v11, v25, v10
	v_pack_b32_f16 v10, v12, v13
	v_pk_mul_f16 v10, v24, v10
	global_store_dwordx2 v[14:15], v[10:11], off
	s_andn2_b64 exec, exec, s[10:11]
	s_cbranch_execnz .LBB4_7
; %bb.8:
	s_or_b64 exec, exec, s[10:11]
	v_mad_u64_u32 v[0:1], s[0:1], v4, s14, v[0:1]
	v_mov_b32_e32 v6, v1
	v_mad_u64_u32 v[6:7], s[0:1], v5, s14, v[6:7]
	v_cmp_ne_u64_e32 vcc, v[2:3], v[4:5]
	v_mov_b32_e32 v1, v6
	s_orn2_b64 s[0:1], vcc, exec
.LBB4_9:
	s_or_b64 exec, exec, s[8:9]
	s_and_b64 exec, exec, s[0:1]
	s_cbranch_execz .LBB4_12
; %bb.10:
	s_mov_b32 s0, 0
	v_lshlrev_b64 v[2:3], 1, v[0:1]
	s_lshl_b32 s4, s14, 1
	s_mov_b64 s[2:3], 0
	v_mov_b32_e32 v4, s20
	v_mov_b32_e32 v5, s21
	s_mov_b32 s5, 0x3fb8aa3b
	s_mov_b32 s6, 0x32a5705f
	;; [unrolled: 1-line block ×4, first 2 shown]
	v_mov_b32_e32 v6, 0x7f800000
	v_mov_b32_e32 v7, s19
	v_mov_b32_e32 v8, s15
	v_mov_b32_e32 v9, s0
.LBB4_11:                               ; =>This Inner Loop Header: Depth=1
	v_add_co_u32_e32 v10, vcc, s16, v2
	v_addc_co_u32_e32 v11, vcc, v4, v3, vcc
	v_add_co_u32_e32 v12, vcc, s17, v2
	v_addc_co_u32_e32 v13, vcc, v5, v3, vcc
	global_load_ushort v14, v[12:13], off
	global_load_ushort v15, v[10:11], off
	v_add_co_u32_e32 v10, vcc, s18, v2
	v_addc_co_u32_e32 v11, vcc, v7, v3, vcc
	v_add_co_u32_e32 v0, vcc, s14, v0
	v_addc_co_u32_e32 v1, vcc, v1, v8, vcc
	v_add_co_u32_e64 v2, s[0:1], s4, v2
	s_waitcnt vmcnt(1)
	v_cvt_f32_f16_e64 v12, -v14
	v_cvt_f32_f16_e32 v13, v14
	v_mul_f32_e32 v16, 0x3fb8aa3b, v12
	v_fma_mix_f32 v17, -v14, s5, -v16 op_sel_hi:[1,0,0]
	v_rndne_f32_e32 v18, v16
	v_fma_mix_f32 v14, -v14, s6, v17 op_sel_hi:[1,0,0]
	v_sub_f32_e32 v16, v16, v18
	v_add_f32_e32 v14, v16, v14
	v_cvt_i32_f32_e32 v17, v18
	v_exp_f32_e32 v14, v14
	v_cmp_ngt_f32_e32 vcc, s7, v12
	v_ldexp_f32 v14, v14, v17
	v_cndmask_b32_e32 v14, 0, v14, vcc
	v_cmp_nlt_f32_e32 vcc, s8, v12
	v_cndmask_b32_e32 v12, v6, v14, vcc
	v_add_f32_e32 v12, 1.0, v12
	v_div_scale_f32 v14, s[10:11], v12, v12, v13
	v_rcp_f32_e32 v16, v14
	v_div_scale_f32 v17, vcc, v13, v12, v13
	v_fma_f32 v18, -v14, v16, 1.0
	v_fmac_f32_e32 v16, v18, v16
	v_mul_f32_e32 v18, v17, v16
	v_fma_f32 v19, -v14, v18, v17
	v_fmac_f32_e32 v18, v19, v16
	v_fma_f32 v14, -v14, v18, v17
	v_div_fmas_f32 v14, v14, v16, v18
	v_div_fixup_f32 v12, v14, v12, v13
	v_cvt_f16_f32_e32 v12, v12
	v_addc_co_u32_e64 v3, vcc, v3, v9, s[0:1]
	v_cmp_le_i64_e32 vcc, s[12:13], v[0:1]
	s_or_b64 s[2:3], vcc, s[2:3]
	s_waitcnt vmcnt(0)
	v_mul_f16_e32 v12, v15, v12
	global_store_short v[10:11], v12, off
	s_andn2_b64 exec, exec, s[2:3]
	s_cbranch_execnz .LBB4_11
.LBB4_12:
	s_endpgm
	.section	.rodata,"a",@progbits
	.p2align	6, 0x0
	.amdhsa_kernel _ZN4vllm18act_and_mul_kernelIN3c104HalfETnPFT_RKS3_EXadL_ZNS_11silu_kernelIS2_EES3_S5_EELb0EEEvPS3_PS4_i
		.amdhsa_group_segment_fixed_size 0
		.amdhsa_private_segment_fixed_size 0
		.amdhsa_kernarg_size 280
		.amdhsa_user_sgpr_count 6
		.amdhsa_user_sgpr_private_segment_buffer 1
		.amdhsa_user_sgpr_dispatch_ptr 0
		.amdhsa_user_sgpr_queue_ptr 0
		.amdhsa_user_sgpr_kernarg_segment_ptr 1
		.amdhsa_user_sgpr_dispatch_id 0
		.amdhsa_user_sgpr_flat_scratch_init 0
		.amdhsa_user_sgpr_kernarg_preload_length 0
		.amdhsa_user_sgpr_kernarg_preload_offset 0
		.amdhsa_user_sgpr_private_segment_size 0
		.amdhsa_uses_dynamic_stack 0
		.amdhsa_system_sgpr_private_segment_wavefront_offset 0
		.amdhsa_system_sgpr_workgroup_id_x 1
		.amdhsa_system_sgpr_workgroup_id_y 0
		.amdhsa_system_sgpr_workgroup_id_z 0
		.amdhsa_system_sgpr_workgroup_info 0
		.amdhsa_system_vgpr_workitem_id 0
		.amdhsa_next_free_vgpr 47
		.amdhsa_next_free_sgpr 27
		.amdhsa_accum_offset 48
		.amdhsa_reserve_vcc 1
		.amdhsa_reserve_flat_scratch 0
		.amdhsa_float_round_mode_32 0
		.amdhsa_float_round_mode_16_64 0
		.amdhsa_float_denorm_mode_32 3
		.amdhsa_float_denorm_mode_16_64 3
		.amdhsa_dx10_clamp 1
		.amdhsa_ieee_mode 1
		.amdhsa_fp16_overflow 0
		.amdhsa_tg_split 0
		.amdhsa_exception_fp_ieee_invalid_op 0
		.amdhsa_exception_fp_denorm_src 0
		.amdhsa_exception_fp_ieee_div_zero 0
		.amdhsa_exception_fp_ieee_overflow 0
		.amdhsa_exception_fp_ieee_underflow 0
		.amdhsa_exception_fp_ieee_inexact 0
		.amdhsa_exception_int_div_zero 0
	.end_amdhsa_kernel
	.section	.text._ZN4vllm18act_and_mul_kernelIN3c104HalfETnPFT_RKS3_EXadL_ZNS_11silu_kernelIS2_EES3_S5_EELb0EEEvPS3_PS4_i,"axG",@progbits,_ZN4vllm18act_and_mul_kernelIN3c104HalfETnPFT_RKS3_EXadL_ZNS_11silu_kernelIS2_EES3_S5_EELb0EEEvPS3_PS4_i,comdat
.Lfunc_end4:
	.size	_ZN4vllm18act_and_mul_kernelIN3c104HalfETnPFT_RKS3_EXadL_ZNS_11silu_kernelIS2_EES3_S5_EELb0EEEvPS3_PS4_i, .Lfunc_end4-_ZN4vllm18act_and_mul_kernelIN3c104HalfETnPFT_RKS3_EXadL_ZNS_11silu_kernelIS2_EES3_S5_EELb0EEEvPS3_PS4_i
                                        ; -- End function
	.section	.AMDGPU.csdata,"",@progbits
; Kernel info:
; codeLenInByte = 2200
; NumSgprs: 31
; NumVgprs: 47
; NumAgprs: 0
; TotalNumVgprs: 47
; ScratchSize: 0
; MemoryBound: 0
; FloatMode: 240
; IeeeMode: 1
; LDSByteSize: 0 bytes/workgroup (compile time only)
; SGPRBlocks: 3
; VGPRBlocks: 5
; NumSGPRsForWavesPerEU: 31
; NumVGPRsForWavesPerEU: 47
; AccumOffset: 48
; Occupancy: 8
; WaveLimiterHint : 0
; COMPUTE_PGM_RSRC2:SCRATCH_EN: 0
; COMPUTE_PGM_RSRC2:USER_SGPR: 6
; COMPUTE_PGM_RSRC2:TRAP_HANDLER: 0
; COMPUTE_PGM_RSRC2:TGID_X_EN: 1
; COMPUTE_PGM_RSRC2:TGID_Y_EN: 0
; COMPUTE_PGM_RSRC2:TGID_Z_EN: 0
; COMPUTE_PGM_RSRC2:TIDIG_COMP_CNT: 0
; COMPUTE_PGM_RSRC3_GFX90A:ACCUM_OFFSET: 11
; COMPUTE_PGM_RSRC3_GFX90A:TG_SPLIT: 0
	.section	.text._ZN4vllm18act_and_mul_kernelIN3c108BFloat16ETnPFT_RKS3_EXadL_ZNS_11silu_kernelIS2_EES3_S5_EELb0EEEvPS3_PS4_i,"axG",@progbits,_ZN4vllm18act_and_mul_kernelIN3c108BFloat16ETnPFT_RKS3_EXadL_ZNS_11silu_kernelIS2_EES3_S5_EELb0EEEvPS3_PS4_i,comdat
	.protected	_ZN4vllm18act_and_mul_kernelIN3c108BFloat16ETnPFT_RKS3_EXadL_ZNS_11silu_kernelIS2_EES3_S5_EELb0EEEvPS3_PS4_i ; -- Begin function _ZN4vllm18act_and_mul_kernelIN3c108BFloat16ETnPFT_RKS3_EXadL_ZNS_11silu_kernelIS2_EES3_S5_EELb0EEEvPS3_PS4_i
	.globl	_ZN4vllm18act_and_mul_kernelIN3c108BFloat16ETnPFT_RKS3_EXadL_ZNS_11silu_kernelIS2_EES3_S5_EELb0EEEvPS3_PS4_i
	.p2align	8
	.type	_ZN4vllm18act_and_mul_kernelIN3c108BFloat16ETnPFT_RKS3_EXadL_ZNS_11silu_kernelIS2_EES3_S5_EELb0EEEvPS3_PS4_i,@function
_ZN4vllm18act_and_mul_kernelIN3c108BFloat16ETnPFT_RKS3_EXadL_ZNS_11silu_kernelIS2_EES3_S5_EELb0EEEvPS3_PS4_i: ; @_ZN4vllm18act_and_mul_kernelIN3c108BFloat16ETnPFT_RKS3_EXadL_ZNS_11silu_kernelIS2_EES3_S5_EELb0EEEvPS3_PS4_i
; %bb.0:
	s_load_dword s12, s[4:5], 0x10
	s_waitcnt lgkmcnt(0)
	v_cmp_gt_i32_e32 vcc, s12, v0
	s_and_saveexec_b64 s[0:1], vcc
	s_cbranch_execz .LBB5_12
; %bb.1:
	s_load_dword s0, s[4:5], 0x24
	s_load_dwordx4 s[8:11], s[4:5], 0x0
	s_ashr_i32 s13, s12, 31
	v_mov_b32_e32 v2, s13
	v_mov_b32_e32 v1, 0
	s_waitcnt lgkmcnt(0)
	s_and_b32 s14, s0, 0xffff
	v_add_co_u32_e32 v4, vcc, s14, v0
	v_addc_co_u32_e64 v5, s[0:1], 0, 0, vcc
	v_cmp_lt_i64_e32 vcc, s[12:13], v[4:5]
	v_cndmask_b32_e32 v6, v2, v5, vcc
	v_mov_b32_e32 v2, s12
	v_cndmask_b32_e32 v3, v2, v4, vcc
	v_cmp_gt_i64_e32 vcc, s[12:13], v[4:5]
	v_cndmask_b32_e64 v2, 0, 1, vcc
	v_add_co_u32_e32 v4, vcc, v4, v2
	v_addc_co_u32_e32 v5, vcc, 0, v5, vcc
	v_sub_co_u32_e32 v3, vcc, v3, v4
	v_subb_co_u32_e32 v5, vcc, v6, v5, vcc
	v_mov_b32_e32 v4, v1
	s_mov_b32 s15, 0
	v_cmp_ne_u64_e32 vcc, 0, v[4:5]
                                        ; implicit-def: $vgpr6_vgpr7
	s_and_saveexec_b64 s[0:1], vcc
	s_xor_b64 s[2:3], exec, s[0:1]
	s_cbranch_execz .LBB5_3
; %bb.2:
	v_cvt_f32_u32_e32 v4, s14
	v_mov_b32_e32 v6, 0x4f800000
	s_sub_u32 s0, 0, s14
	s_subb_u32 s1, 0, 0
	v_mac_f32_e32 v4, 0, v6
	v_rcp_f32_e32 v4, v4
	v_mul_f32_e32 v4, 0x5f7ffffc, v4
	v_mul_f32_e32 v6, 0x2f800000, v4
	v_trunc_f32_e32 v6, v6
	v_madmk_f32 v4, v6, 0xcf800000, v4
	v_cvt_u32_f32_e32 v6, v6
	v_cvt_u32_f32_e32 v4, v4
	v_mul_lo_u32 v7, s0, v6
	v_mul_hi_u32 v9, s0, v4
	v_mul_lo_u32 v8, s1, v4
	v_add_u32_e32 v7, v9, v7
	v_mul_lo_u32 v10, s0, v4
	v_add_u32_e32 v7, v7, v8
	v_mul_hi_u32 v9, v4, v10
	v_mul_lo_u32 v11, v4, v7
	v_mul_hi_u32 v8, v4, v7
	v_add_co_u32_e32 v9, vcc, v9, v11
	v_addc_co_u32_e32 v8, vcc, 0, v8, vcc
	v_mul_hi_u32 v12, v6, v10
	v_mul_lo_u32 v10, v6, v10
	v_add_co_u32_e32 v9, vcc, v9, v10
	v_mul_hi_u32 v11, v6, v7
	v_addc_co_u32_e32 v8, vcc, v8, v12, vcc
	v_addc_co_u32_e32 v9, vcc, 0, v11, vcc
	v_mul_lo_u32 v7, v6, v7
	v_add_co_u32_e32 v7, vcc, v8, v7
	v_addc_co_u32_e32 v8, vcc, 0, v9, vcc
	v_add_co_u32_e32 v4, vcc, v4, v7
	v_addc_co_u32_e32 v6, vcc, v6, v8, vcc
	v_mul_lo_u32 v7, s0, v6
	v_mul_hi_u32 v8, s0, v4
	v_add_u32_e32 v7, v8, v7
	v_mul_lo_u32 v8, s1, v4
	v_add_u32_e32 v7, v7, v8
	v_mul_lo_u32 v9, s0, v4
	v_mul_hi_u32 v10, v6, v9
	v_mul_lo_u32 v11, v6, v9
	v_mul_lo_u32 v13, v4, v7
	v_mul_hi_u32 v9, v4, v9
	v_mul_hi_u32 v12, v4, v7
	v_add_co_u32_e32 v9, vcc, v9, v13
	v_addc_co_u32_e32 v12, vcc, 0, v12, vcc
	v_add_co_u32_e32 v9, vcc, v9, v11
	v_mul_hi_u32 v8, v6, v7
	v_addc_co_u32_e32 v9, vcc, v12, v10, vcc
	v_addc_co_u32_e32 v8, vcc, 0, v8, vcc
	v_mul_lo_u32 v7, v6, v7
	v_add_co_u32_e32 v7, vcc, v9, v7
	v_addc_co_u32_e32 v8, vcc, 0, v8, vcc
	v_add_co_u32_e32 v4, vcc, v4, v7
	v_addc_co_u32_e32 v8, vcc, v6, v8, vcc
	v_mad_u64_u32 v[6:7], s[0:1], v3, v8, 0
	v_mul_hi_u32 v9, v3, v4
	v_add_co_u32_e32 v10, vcc, v9, v6
	v_addc_co_u32_e32 v11, vcc, 0, v7, vcc
	v_mad_u64_u32 v[6:7], s[0:1], v5, v8, 0
	v_mad_u64_u32 v[8:9], s[0:1], v5, v4, 0
	v_add_co_u32_e32 v4, vcc, v10, v8
	v_addc_co_u32_e32 v4, vcc, v11, v9, vcc
	v_addc_co_u32_e32 v7, vcc, 0, v7, vcc
	v_add_co_u32_e32 v10, vcc, v4, v6
	v_addc_co_u32_e32 v11, vcc, 0, v7, vcc
	v_mad_u64_u32 v[6:7], s[0:1], s14, v10, 0
	v_mov_b32_e32 v4, v7
	v_mad_u64_u32 v[8:9], s[0:1], s14, v11, v[4:5]
	v_sub_co_u32_e32 v3, vcc, v3, v6
	v_subb_co_u32_e32 v4, vcc, v5, v8, vcc
	v_subrev_co_u32_e32 v5, vcc, s14, v3
	v_subbrev_co_u32_e32 v6, vcc, 0, v4, vcc
	v_cmp_le_u32_e32 vcc, s14, v5
	v_cndmask_b32_e64 v5, 0, -1, vcc
	v_cmp_eq_u32_e32 vcc, 0, v6
	v_cndmask_b32_e32 v5, -1, v5, vcc
	v_add_co_u32_e32 v6, vcc, 2, v10
	v_addc_co_u32_e32 v7, vcc, 0, v11, vcc
	v_add_co_u32_e32 v8, vcc, 1, v10
	v_cmp_le_u32_e64 s[0:1], s14, v3
	v_addc_co_u32_e32 v9, vcc, 0, v11, vcc
	v_cndmask_b32_e64 v3, 0, -1, s[0:1]
	v_cmp_eq_u32_e64 s[0:1], 0, v4
	v_cmp_ne_u32_e32 vcc, 0, v5
	v_cndmask_b32_e64 v3, -1, v3, s[0:1]
	v_cndmask_b32_e32 v5, v9, v7, vcc
	v_cmp_ne_u32_e64 s[0:1], 0, v3
	v_cndmask_b32_e32 v3, v8, v6, vcc
	v_cndmask_b32_e64 v7, v11, v5, s[0:1]
	v_cndmask_b32_e64 v6, v10, v3, s[0:1]
                                        ; implicit-def: $vgpr3
.LBB5_3:
	s_andn2_saveexec_b64 s[0:1], s[2:3]
	s_cbranch_execz .LBB5_5
; %bb.4:
	v_cvt_f32_u32_e32 v4, s14
	s_sub_i32 s2, 0, s14
	v_mov_b32_e32 v7, 0
	v_rcp_iflag_f32_e32 v4, v4
	v_mul_f32_e32 v4, 0x4f7ffffe, v4
	v_cvt_u32_f32_e32 v4, v4
	v_mul_lo_u32 v5, s2, v4
	v_mul_hi_u32 v5, v4, v5
	v_add_u32_e32 v4, v4, v5
	v_mul_hi_u32 v4, v3, v4
	v_mul_lo_u32 v5, v4, s14
	v_sub_u32_e32 v3, v3, v5
	v_add_u32_e32 v6, 1, v4
	v_subrev_u32_e32 v5, s14, v3
	v_cmp_le_u32_e32 vcc, s14, v3
	v_cndmask_b32_e32 v3, v3, v5, vcc
	v_cndmask_b32_e32 v4, v4, v6, vcc
	v_add_u32_e32 v5, 1, v4
	v_cmp_le_u32_e32 vcc, s14, v3
	v_cndmask_b32_e32 v6, v4, v5, vcc
.LBB5_5:
	s_or_b64 exec, exec, s[0:1]
	s_mul_i32 s0, s6, s13
	s_mul_hi_u32 s1, s6, s12
	s_add_i32 s1, s1, s0
	s_mul_i32 s0, s6, s12
	s_lshl_b64 s[2:3], s[0:1], 2
	s_add_u32 s10, s10, s2
	s_addc_u32 s18, s11, s3
	s_lshl_b64 s[2:3], s[12:13], 1
	v_add_co_u32_e32 v2, vcc, v6, v2
	s_add_u32 s11, s10, s2
	v_addc_co_u32_e32 v3, vcc, 0, v7, vcc
	s_addc_u32 s19, s18, s3
	s_lshl_b64 s[0:1], s[0:1], 1
	v_add_co_u32_e32 v2, vcc, 1, v2
	s_add_u32 s16, s8, s0
	v_addc_co_u32_e32 v3, vcc, 0, v3, vcc
	s_addc_u32 s17, s9, s1
	v_cmp_lt_u64_e32 vcc, 3, v[2:3]
	v_cmp_eq_u16_e64 s[0:1], s14, 1
	s_and_b64 s[2:3], vcc, s[0:1]
	s_mov_b64 s[0:1], -1
	s_and_saveexec_b64 s[6:7], s[2:3]
	s_cbranch_execz .LBB5_9
; %bb.6:
	v_and_b32_e32 v4, -4, v2
	v_mov_b32_e32 v5, v3
	s_mov_b32 s0, 0
	v_lshlrev_b32_e32 v6, 1, v0
	v_mov_b32_e32 v7, 0
	s_lshl_b32 s20, s14, 3
	s_mov_b64 s[8:9], 0
	v_mov_b32_e32 v16, s18
	v_mov_b32_e32 v17, s19
	s_movk_i32 s21, 0x7fff
	v_mov_b32_e32 v18, 0x7fc00000
	s_mov_b32 s22, 0x3fb8aa3b
	s_mov_b32 s23, 0xc2ce8ed0
	;; [unrolled: 1-line block ×3, first 2 shown]
	v_mov_b32_e32 v19, 0x7f800000
	v_mov_b32_e32 v20, 0x7fc0
	s_mov_b32 s25, 0x5040100
	v_mov_b32_e32 v21, s17
	v_mov_b32_e32 v22, s0
	v_pk_mov_b32 v[8:9], v[4:5], v[4:5] op_sel:[0,1]
.LBB5_7:                                ; =>This Inner Loop Header: Depth=1
	v_add_co_u32_e32 v10, vcc, s10, v6
	v_addc_co_u32_e32 v11, vcc, v16, v7, vcc
	v_add_co_u32_e32 v12, vcc, s11, v6
	v_addc_co_u32_e32 v13, vcc, v17, v7, vcc
	global_load_dwordx2 v[24:25], v[12:13], off
	global_load_dwordx2 v[26:27], v[10:11], off
	v_add_co_u32_e32 v14, vcc, s16, v6
	v_addc_co_u32_e32 v15, vcc, v21, v7, vcc
	v_add_co_u32_e32 v8, vcc, -4, v8
	v_addc_co_u32_e32 v9, vcc, -1, v9, vcc
	v_add_co_u32_e32 v6, vcc, s20, v6
	v_addc_co_u32_e32 v7, vcc, v7, v22, vcc
	v_cmp_eq_u64_e32 vcc, 0, v[8:9]
	s_or_b64 s[8:9], vcc, s[8:9]
	s_waitcnt vmcnt(1)
	v_and_b32_e32 v23, 0xffff0000, v25
	v_lshlrev_b32_e32 v28, 16, v25
	v_and_b32_e32 v29, 0xffff0000, v24
	v_lshlrev_b32_e32 v30, 16, v24
	s_waitcnt vmcnt(0)
	v_and_b32_e32 v13, 0xffff0000, v27
	v_lshlrev_b32_e32 v12, 16, v27
	v_and_b32_e32 v11, 0xffff0000, v26
	v_lshlrev_b32_e32 v10, 16, v26
	v_xor_b32_e32 v26, 0x80000000, v28
	v_xor_b32_e32 v27, 0x80000000, v23
	;; [unrolled: 1-line block ×4, first 2 shown]
	v_bfe_u32 v31, v27, 16, 1
	v_bfe_u32 v32, v26, 16, 1
	;; [unrolled: 1-line block ×4, first 2 shown]
	v_add3_u32 v26, v26, v32, s21
	v_add3_u32 v27, v27, v31, s21
	;; [unrolled: 1-line block ×4, first 2 shown]
	v_and_b32_e32 v27, 0xffff0000, v27
	v_and_b32_e32 v26, 0xffff0000, v26
	v_cmp_o_f32_e64 s[0:1], v28, v28
	v_cmp_o_f32_e64 s[2:3], v23, v23
	v_and_b32_e32 v25, 0xffff0000, v25
	v_and_b32_e32 v24, 0xffff0000, v24
	v_cmp_o_f32_e32 vcc, v29, v29
	v_cmp_o_f32_e64 s[4:5], v30, v30
	v_cndmask_b32_e64 v26, v18, v26, s[0:1]
	v_cndmask_b32_e64 v27, v18, v27, s[2:3]
	;; [unrolled: 1-line block ×3, first 2 shown]
	v_cndmask_b32_e32 v25, v18, v25, vcc
	v_mul_f32_e32 v31, 0x3fb8aa3b, v27
	v_mul_f32_e32 v32, 0x3fb8aa3b, v26
	;; [unrolled: 1-line block ×4, first 2 shown]
	v_fma_f32 v35, v27, s22, -v31
	v_rndne_f32_e32 v36, v31
	v_fma_f32 v37, v26, s22, -v32
	v_rndne_f32_e32 v38, v32
	v_fma_f32 v39, v25, s22, -v33
	v_rndne_f32_e32 v40, v33
	v_fma_f32 v41, v24, s22, -v34
	v_rndne_f32_e32 v42, v34
	v_fmac_f32_e32 v35, 0x32a5705f, v27
	v_sub_f32_e32 v31, v31, v36
	v_fmac_f32_e32 v37, 0x32a5705f, v26
	v_sub_f32_e32 v32, v32, v38
	v_fmac_f32_e32 v39, 0x32a5705f, v25
	v_sub_f32_e32 v33, v33, v40
	v_fmac_f32_e32 v41, 0x32a5705f, v24
	v_sub_f32_e32 v34, v34, v42
	v_add_f32_e32 v31, v31, v35
	v_add_f32_e32 v32, v32, v37
	v_cvt_i32_f32_e32 v36, v36
	v_cvt_i32_f32_e32 v38, v38
	v_add_f32_e32 v33, v33, v39
	v_add_f32_e32 v34, v34, v41
	v_exp_f32_e32 v31, v31
	v_exp_f32_e32 v32, v32
	v_cvt_i32_f32_e32 v40, v40
	v_cvt_i32_f32_e32 v42, v42
	v_exp_f32_e32 v33, v33
	v_exp_f32_e32 v34, v34
	v_ldexp_f32 v31, v31, v36
	v_ldexp_f32 v32, v32, v38
	v_cmp_ngt_f32_e32 vcc, s23, v26
	v_cmp_ngt_f32_e64 s[4:5], s23, v27
	v_ldexp_f32 v33, v33, v40
	v_cmp_ngt_f32_e64 s[0:1], s23, v25
	v_ldexp_f32 v34, v34, v42
	v_cmp_ngt_f32_e64 s[2:3], s23, v24
	v_cndmask_b32_e64 v31, 0, v31, s[4:5]
	v_cndmask_b32_e32 v32, 0, v32, vcc
	v_cmp_nlt_f32_e32 vcc, s24, v26
	v_cmp_nlt_f32_e64 s[4:5], s24, v27
	v_cndmask_b32_e64 v26, 0, v33, s[0:1]
	v_cmp_nlt_f32_e64 s[0:1], s24, v25
	v_cndmask_b32_e64 v33, 0, v34, s[2:3]
	v_cmp_nlt_f32_e64 s[2:3], s24, v24
	v_cndmask_b32_e64 v25, v19, v31, s[4:5]
	v_cndmask_b32_e32 v24, v19, v32, vcc
	v_pk_add_f32 v[24:25], v[24:25], 1.0 op_sel_hi:[1,0]
	v_cndmask_b32_e64 v27, v19, v26, s[0:1]
	v_cndmask_b32_e64 v26, v19, v33, s[2:3]
	v_div_scale_f32 v31, s[0:1], v25, v25, v23
	v_pk_add_f32 v[26:27], v[26:27], 1.0 op_sel_hi:[1,0]
	v_div_scale_f32 v33, s[0:1], v24, v24, v28
	v_rcp_f32_e32 v39, v31
	v_div_scale_f32 v35, s[2:3], v27, v27, v29
	v_rcp_f32_e32 v40, v33
	;; [unrolled: 2-line block ×3, first 2 shown]
	v_rcp_f32_e32 v42, v37
	v_fma_f32 v43, -v31, v39, 1.0
	v_div_scale_f32 v32, vcc, v23, v25, v23
	v_fma_f32 v44, -v33, v40, 1.0
	v_fmac_f32_e32 v39, v43, v39
	v_div_scale_f32 v34, s[0:1], v28, v24, v28
	v_fma_f32 v45, -v35, v41, 1.0
	v_fmac_f32_e32 v40, v44, v40
	v_mul_f32_e32 v43, v32, v39
	v_div_scale_f32 v36, s[2:3], v29, v27, v29
	v_fma_f32 v46, -v37, v42, 1.0
	v_fmac_f32_e32 v41, v45, v41
	v_mul_f32_e32 v44, v34, v40
	v_fma_f32 v47, -v31, v43, v32
	v_div_scale_f32 v38, s[4:5], v30, v26, v30
	v_fmac_f32_e32 v42, v46, v42
	v_mul_f32_e32 v45, v36, v41
	v_fma_f32 v48, -v33, v44, v34
	v_fmac_f32_e32 v43, v47, v39
	v_mul_f32_e32 v46, v38, v42
	v_fma_f32 v49, -v35, v45, v36
	v_fmac_f32_e32 v44, v48, v40
	v_fma_f32 v31, -v31, v43, v32
	v_fma_f32 v50, -v37, v46, v38
	v_fmac_f32_e32 v45, v49, v41
	v_fma_f32 v32, -v33, v44, v34
	v_div_fmas_f32 v31, v31, v39, v43
	s_mov_b64 vcc, s[0:1]
	v_fmac_f32_e32 v46, v50, v42
	v_fma_f32 v33, -v35, v45, v36
	v_div_fixup_f32 v23, v31, v25, v23
	v_div_fmas_f32 v25, v32, v40, v44
	s_mov_b64 vcc, s[2:3]
	v_fma_f32 v34, -v37, v46, v38
	v_div_fixup_f32 v24, v25, v24, v28
	v_div_fmas_f32 v25, v33, v41, v45
	v_bfe_u32 v28, v23, 16, 1
	s_mov_b64 vcc, s[4:5]
	v_div_fixup_f32 v27, v25, v27, v29
	v_div_fmas_f32 v25, v34, v42, v46
	v_bfe_u32 v29, v24, 16, 1
	v_add3_u32 v28, v23, v28, s21
	v_div_fixup_f32 v26, v25, v26, v30
	v_bfe_u32 v25, v27, 16, 1
	v_add3_u32 v29, v24, v29, s21
	v_and_b32_e32 v28, 0xffff0000, v28
	v_cmp_o_f32_e32 vcc, v23, v23
	v_bfe_u32 v23, v26, 16, 1
	v_add3_u32 v30, v27, v25, s21
	v_and_b32_e32 v29, 0xffff0000, v29
	v_cndmask_b32_e32 v25, v18, v28, vcc
	v_cmp_o_f32_e32 vcc, v24, v24
	v_add3_u32 v23, v26, v23, s21
	v_and_b32_e32 v28, 0xffff0000, v30
	v_cndmask_b32_e32 v24, v18, v29, vcc
	v_cmp_o_f32_e32 vcc, v27, v27
	v_and_b32_e32 v23, 0xffff0000, v23
	v_cndmask_b32_e32 v27, v18, v28, vcc
	v_cmp_o_f32_e32 vcc, v26, v26
	v_pk_mul_f32 v[12:13], v[24:25], v[12:13]
	v_cndmask_b32_e32 v26, v18, v23, vcc
	v_bfe_u32 v23, v12, 16, 1
	v_bfe_u32 v24, v13, 16, 1
	v_pk_mul_f32 v[10:11], v[26:27], v[10:11]
	v_add3_u32 v24, v13, v24, s21
	v_add3_u32 v23, v12, v23, s21
	v_bfe_u32 v25, v10, 16, 1
	v_bfe_u32 v26, v11, 16, 1
	v_lshrrev_b32_e32 v23, 16, v23
	v_lshrrev_b32_e32 v24, 16, v24
	v_cmp_o_f32_e32 vcc, v13, v13
	v_cmp_o_f32_e64 s[0:1], v12, v12
	v_add3_u32 v12, v11, v26, s21
	v_add3_u32 v13, v10, v25, s21
	v_cndmask_b32_e64 v23, v20, v23, s[0:1]
	v_cndmask_b32_e32 v24, v20, v24, vcc
	v_lshrrev_b32_e32 v13, 16, v13
	v_lshrrev_b32_e32 v12, 16, v12
	v_cmp_o_f32_e32 vcc, v11, v11
	v_cmp_o_f32_e64 s[0:1], v10, v10
	v_cndmask_b32_e64 v10, v20, v13, s[0:1]
	v_cndmask_b32_e32 v12, v20, v12, vcc
	v_perm_b32 v11, v24, v23, s25
	v_perm_b32 v10, v12, v10, s25
	global_store_dwordx2 v[14:15], v[10:11], off
	s_andn2_b64 exec, exec, s[8:9]
	s_cbranch_execnz .LBB5_7
; %bb.8:
	s_or_b64 exec, exec, s[8:9]
	v_mad_u64_u32 v[0:1], s[0:1], v4, s14, v[0:1]
	v_mov_b32_e32 v6, v1
	v_mad_u64_u32 v[6:7], s[0:1], v5, s14, v[6:7]
	v_cmp_ne_u64_e32 vcc, v[2:3], v[4:5]
	v_mov_b32_e32 v1, v6
	s_orn2_b64 s[0:1], vcc, exec
.LBB5_9:
	s_or_b64 exec, exec, s[6:7]
	s_and_b64 exec, exec, s[0:1]
	s_cbranch_execz .LBB5_12
; %bb.10:
	s_mov_b32 s7, 0
	v_lshlrev_b64 v[2:3], 1, v[0:1]
	s_lshl_b32 s2, s14, 1
	s_mov_b64 s[0:1], 0
	v_mov_b32_e32 v4, s18
	v_mov_b32_e32 v5, s19
	s_movk_i32 s3, 0x7fff
	v_mov_b32_e32 v6, 0x7fc00000
	s_mov_b32 s4, 0x3fb8aa3b
	s_mov_b32 s5, 0xc2ce8ed0
	;; [unrolled: 1-line block ×3, first 2 shown]
	v_mov_b32_e32 v7, 0x7f800000
	v_mov_b32_e32 v8, 0x7fc0
	;; [unrolled: 1-line block ×5, first 2 shown]
.LBB5_11:                               ; =>This Inner Loop Header: Depth=1
	v_add_co_u32_e32 v12, vcc, s10, v2
	v_addc_co_u32_e32 v13, vcc, v4, v3, vcc
	v_add_co_u32_e32 v14, vcc, s11, v2
	v_addc_co_u32_e32 v15, vcc, v5, v3, vcc
	global_load_ushort v16, v[14:15], off
	global_load_ushort v17, v[12:13], off
	v_add_co_u32_e32 v12, vcc, s16, v2
	v_addc_co_u32_e32 v13, vcc, v9, v3, vcc
	v_add_co_u32_e32 v0, vcc, s14, v0
	v_addc_co_u32_e32 v1, vcc, v1, v10, vcc
	;; [unrolled: 2-line block ×3, first 2 shown]
	v_cmp_le_i64_e32 vcc, s[12:13], v[0:1]
	s_or_b64 s[0:1], vcc, s[0:1]
	s_waitcnt vmcnt(1)
	v_lshlrev_b32_e32 v14, 16, v16
	v_xor_b32_e32 v16, 0x80000000, v14
	s_waitcnt vmcnt(0)
	v_lshlrev_b32_e32 v15, 16, v17
	v_bfe_u32 v17, v16, 16, 1
	v_add3_u32 v16, v16, v17, s3
	v_and_b32_e32 v16, 0xffff0000, v16
	v_cmp_o_f32_e32 vcc, v14, v14
	v_cndmask_b32_e32 v16, v6, v16, vcc
	v_mul_f32_e32 v17, 0x3fb8aa3b, v16
	v_fma_f32 v18, v16, s4, -v17
	v_rndne_f32_e32 v19, v17
	v_fmac_f32_e32 v18, 0x32a5705f, v16
	v_sub_f32_e32 v17, v17, v19
	v_add_f32_e32 v17, v17, v18
	v_cvt_i32_f32_e32 v19, v19
	v_exp_f32_e32 v17, v17
	v_cmp_ngt_f32_e32 vcc, s5, v16
	v_ldexp_f32 v17, v17, v19
	v_cndmask_b32_e32 v17, 0, v17, vcc
	v_cmp_nlt_f32_e32 vcc, s6, v16
	v_cndmask_b32_e32 v16, v7, v17, vcc
	v_add_f32_e32 v16, 1.0, v16
	v_div_scale_f32 v17, s[8:9], v16, v16, v14
	v_rcp_f32_e32 v19, v17
	v_div_scale_f32 v18, vcc, v14, v16, v14
	v_fma_f32 v20, -v17, v19, 1.0
	v_fmac_f32_e32 v19, v20, v19
	v_mul_f32_e32 v20, v18, v19
	v_fma_f32 v21, -v17, v20, v18
	v_fmac_f32_e32 v20, v21, v19
	v_fma_f32 v17, -v17, v20, v18
	v_div_fmas_f32 v17, v17, v19, v20
	v_div_fixup_f32 v14, v17, v16, v14
	v_bfe_u32 v16, v14, 16, 1
	v_add3_u32 v16, v14, v16, s3
	v_and_b32_e32 v16, 0xffff0000, v16
	v_cmp_o_f32_e32 vcc, v14, v14
	v_cndmask_b32_e32 v14, v6, v16, vcc
	v_mul_f32_e32 v14, v14, v15
	v_bfe_u32 v15, v14, 16, 1
	v_add3_u32 v15, v14, v15, s3
	v_lshrrev_b32_e32 v15, 16, v15
	v_cmp_o_f32_e32 vcc, v14, v14
	v_cndmask_b32_e32 v14, v8, v15, vcc
	global_store_short v[12:13], v14, off
	s_andn2_b64 exec, exec, s[0:1]
	s_cbranch_execnz .LBB5_11
.LBB5_12:
	s_endpgm
	.section	.rodata,"a",@progbits
	.p2align	6, 0x0
	.amdhsa_kernel _ZN4vllm18act_and_mul_kernelIN3c108BFloat16ETnPFT_RKS3_EXadL_ZNS_11silu_kernelIS2_EES3_S5_EELb0EEEvPS3_PS4_i
		.amdhsa_group_segment_fixed_size 0
		.amdhsa_private_segment_fixed_size 0
		.amdhsa_kernarg_size 280
		.amdhsa_user_sgpr_count 6
		.amdhsa_user_sgpr_private_segment_buffer 1
		.amdhsa_user_sgpr_dispatch_ptr 0
		.amdhsa_user_sgpr_queue_ptr 0
		.amdhsa_user_sgpr_kernarg_segment_ptr 1
		.amdhsa_user_sgpr_dispatch_id 0
		.amdhsa_user_sgpr_flat_scratch_init 0
		.amdhsa_user_sgpr_kernarg_preload_length 0
		.amdhsa_user_sgpr_kernarg_preload_offset 0
		.amdhsa_user_sgpr_private_segment_size 0
		.amdhsa_uses_dynamic_stack 0
		.amdhsa_system_sgpr_private_segment_wavefront_offset 0
		.amdhsa_system_sgpr_workgroup_id_x 1
		.amdhsa_system_sgpr_workgroup_id_y 0
		.amdhsa_system_sgpr_workgroup_id_z 0
		.amdhsa_system_sgpr_workgroup_info 0
		.amdhsa_system_vgpr_workitem_id 0
		.amdhsa_next_free_vgpr 51
		.amdhsa_next_free_sgpr 26
		.amdhsa_accum_offset 52
		.amdhsa_reserve_vcc 1
		.amdhsa_reserve_flat_scratch 0
		.amdhsa_float_round_mode_32 0
		.amdhsa_float_round_mode_16_64 0
		.amdhsa_float_denorm_mode_32 3
		.amdhsa_float_denorm_mode_16_64 3
		.amdhsa_dx10_clamp 1
		.amdhsa_ieee_mode 1
		.amdhsa_fp16_overflow 0
		.amdhsa_tg_split 0
		.amdhsa_exception_fp_ieee_invalid_op 0
		.amdhsa_exception_fp_denorm_src 0
		.amdhsa_exception_fp_ieee_div_zero 0
		.amdhsa_exception_fp_ieee_overflow 0
		.amdhsa_exception_fp_ieee_underflow 0
		.amdhsa_exception_fp_ieee_inexact 0
		.amdhsa_exception_int_div_zero 0
	.end_amdhsa_kernel
	.section	.text._ZN4vllm18act_and_mul_kernelIN3c108BFloat16ETnPFT_RKS3_EXadL_ZNS_11silu_kernelIS2_EES3_S5_EELb0EEEvPS3_PS4_i,"axG",@progbits,_ZN4vllm18act_and_mul_kernelIN3c108BFloat16ETnPFT_RKS3_EXadL_ZNS_11silu_kernelIS2_EES3_S5_EELb0EEEvPS3_PS4_i,comdat
.Lfunc_end5:
	.size	_ZN4vllm18act_and_mul_kernelIN3c108BFloat16ETnPFT_RKS3_EXadL_ZNS_11silu_kernelIS2_EES3_S5_EELb0EEEvPS3_PS4_i, .Lfunc_end5-_ZN4vllm18act_and_mul_kernelIN3c108BFloat16ETnPFT_RKS3_EXadL_ZNS_11silu_kernelIS2_EES3_S5_EELb0EEEvPS3_PS4_i
                                        ; -- End function
	.section	.AMDGPU.csdata,"",@progbits
; Kernel info:
; codeLenInByte = 2728
; NumSgprs: 30
; NumVgprs: 51
; NumAgprs: 0
; TotalNumVgprs: 51
; ScratchSize: 0
; MemoryBound: 0
; FloatMode: 240
; IeeeMode: 1
; LDSByteSize: 0 bytes/workgroup (compile time only)
; SGPRBlocks: 3
; VGPRBlocks: 6
; NumSGPRsForWavesPerEU: 30
; NumVGPRsForWavesPerEU: 51
; AccumOffset: 52
; Occupancy: 8
; WaveLimiterHint : 0
; COMPUTE_PGM_RSRC2:SCRATCH_EN: 0
; COMPUTE_PGM_RSRC2:USER_SGPR: 6
; COMPUTE_PGM_RSRC2:TRAP_HANDLER: 0
; COMPUTE_PGM_RSRC2:TGID_X_EN: 1
; COMPUTE_PGM_RSRC2:TGID_Y_EN: 0
; COMPUTE_PGM_RSRC2:TGID_Z_EN: 0
; COMPUTE_PGM_RSRC2:TIDIG_COMP_CNT: 0
; COMPUTE_PGM_RSRC3_GFX90A:ACCUM_OFFSET: 12
; COMPUTE_PGM_RSRC3_GFX90A:TG_SPLIT: 0
	.section	.text._ZN4vllm18act_and_mul_kernelIfTnPFT_RKS1_EXadL_ZNS_11gelu_kernelIfEES1_S3_EELb1EEEvPS1_PS2_i,"axG",@progbits,_ZN4vllm18act_and_mul_kernelIfTnPFT_RKS1_EXadL_ZNS_11gelu_kernelIfEES1_S3_EELb1EEEvPS1_PS2_i,comdat
	.protected	_ZN4vllm18act_and_mul_kernelIfTnPFT_RKS1_EXadL_ZNS_11gelu_kernelIfEES1_S3_EELb1EEEvPS1_PS2_i ; -- Begin function _ZN4vllm18act_and_mul_kernelIfTnPFT_RKS1_EXadL_ZNS_11gelu_kernelIfEES1_S3_EELb1EEEvPS1_PS2_i
	.globl	_ZN4vllm18act_and_mul_kernelIfTnPFT_RKS1_EXadL_ZNS_11gelu_kernelIfEES1_S3_EELb1EEEvPS1_PS2_i
	.p2align	8
	.type	_ZN4vllm18act_and_mul_kernelIfTnPFT_RKS1_EXadL_ZNS_11gelu_kernelIfEES1_S3_EELb1EEEvPS1_PS2_i,@function
_ZN4vllm18act_and_mul_kernelIfTnPFT_RKS1_EXadL_ZNS_11gelu_kernelIfEES1_S3_EELb1EEEvPS1_PS2_i: ; @_ZN4vllm18act_and_mul_kernelIfTnPFT_RKS1_EXadL_ZNS_11gelu_kernelIfEES1_S3_EELb1EEEvPS1_PS2_i
; %bb.0:
	s_load_dword s2, s[4:5], 0x10
	s_waitcnt lgkmcnt(0)
	v_cmp_gt_i32_e32 vcc, s2, v0
	s_and_saveexec_b64 s[0:1], vcc
	s_cbranch_execz .LBB6_16
; %bb.1:
	s_load_dword s0, s[4:5], 0x24
	s_load_dwordx4 s[8:11], s[4:5], 0x0
	s_ashr_i32 s3, s2, 31
	v_mov_b32_e32 v2, s3
	v_mov_b32_e32 v1, 0
	s_waitcnt lgkmcnt(0)
	s_and_b32 s13, s0, 0xffff
	v_add_co_u32_e32 v4, vcc, s13, v0
	v_addc_co_u32_e64 v5, s[0:1], 0, 0, vcc
	v_cmp_lt_i64_e32 vcc, s[2:3], v[4:5]
	v_cndmask_b32_e32 v6, v2, v5, vcc
	v_mov_b32_e32 v2, s2
	v_cndmask_b32_e32 v3, v2, v4, vcc
	v_cmp_gt_i64_e32 vcc, s[2:3], v[4:5]
	v_cndmask_b32_e64 v2, 0, 1, vcc
	v_add_co_u32_e32 v4, vcc, v4, v2
	v_addc_co_u32_e32 v5, vcc, 0, v5, vcc
	v_sub_co_u32_e32 v3, vcc, v3, v4
	v_subb_co_u32_e32 v5, vcc, v6, v5, vcc
	v_mov_b32_e32 v4, v1
	s_mov_b32 s15, 0
	v_cmp_ne_u64_e32 vcc, 0, v[4:5]
                                        ; implicit-def: $vgpr6_vgpr7
	s_and_saveexec_b64 s[0:1], vcc
	s_xor_b64 s[4:5], exec, s[0:1]
	s_cbranch_execz .LBB6_3
; %bb.2:
	v_cvt_f32_u32_e32 v4, s13
	v_mov_b32_e32 v6, 0x4f800000
	s_sub_u32 s0, 0, s13
	s_subb_u32 s1, 0, 0
	v_mac_f32_e32 v4, 0, v6
	v_rcp_f32_e32 v4, v4
	v_mul_f32_e32 v4, 0x5f7ffffc, v4
	v_mul_f32_e32 v6, 0x2f800000, v4
	v_trunc_f32_e32 v6, v6
	v_madmk_f32 v4, v6, 0xcf800000, v4
	v_cvt_u32_f32_e32 v6, v6
	v_cvt_u32_f32_e32 v4, v4
	v_mul_lo_u32 v7, s0, v6
	v_mul_hi_u32 v9, s0, v4
	v_mul_lo_u32 v8, s1, v4
	v_add_u32_e32 v7, v9, v7
	v_mul_lo_u32 v10, s0, v4
	v_add_u32_e32 v7, v7, v8
	v_mul_hi_u32 v9, v4, v10
	v_mul_lo_u32 v11, v4, v7
	v_mul_hi_u32 v8, v4, v7
	v_add_co_u32_e32 v9, vcc, v9, v11
	v_addc_co_u32_e32 v8, vcc, 0, v8, vcc
	v_mul_hi_u32 v12, v6, v10
	v_mul_lo_u32 v10, v6, v10
	v_add_co_u32_e32 v9, vcc, v9, v10
	v_mul_hi_u32 v11, v6, v7
	v_addc_co_u32_e32 v8, vcc, v8, v12, vcc
	v_addc_co_u32_e32 v9, vcc, 0, v11, vcc
	v_mul_lo_u32 v7, v6, v7
	v_add_co_u32_e32 v7, vcc, v8, v7
	v_addc_co_u32_e32 v8, vcc, 0, v9, vcc
	v_add_co_u32_e32 v4, vcc, v4, v7
	v_addc_co_u32_e32 v6, vcc, v6, v8, vcc
	v_mul_lo_u32 v7, s0, v6
	v_mul_hi_u32 v8, s0, v4
	v_add_u32_e32 v7, v8, v7
	v_mul_lo_u32 v8, s1, v4
	v_add_u32_e32 v7, v7, v8
	v_mul_lo_u32 v9, s0, v4
	v_mul_hi_u32 v10, v6, v9
	v_mul_lo_u32 v11, v6, v9
	v_mul_lo_u32 v13, v4, v7
	v_mul_hi_u32 v9, v4, v9
	v_mul_hi_u32 v12, v4, v7
	v_add_co_u32_e32 v9, vcc, v9, v13
	v_addc_co_u32_e32 v12, vcc, 0, v12, vcc
	v_add_co_u32_e32 v9, vcc, v9, v11
	v_mul_hi_u32 v8, v6, v7
	v_addc_co_u32_e32 v9, vcc, v12, v10, vcc
	v_addc_co_u32_e32 v8, vcc, 0, v8, vcc
	v_mul_lo_u32 v7, v6, v7
	v_add_co_u32_e32 v7, vcc, v9, v7
	v_addc_co_u32_e32 v8, vcc, 0, v8, vcc
	v_add_co_u32_e32 v4, vcc, v4, v7
	v_addc_co_u32_e32 v8, vcc, v6, v8, vcc
	v_mad_u64_u32 v[6:7], s[0:1], v3, v8, 0
	v_mul_hi_u32 v9, v3, v4
	v_add_co_u32_e32 v10, vcc, v9, v6
	v_addc_co_u32_e32 v11, vcc, 0, v7, vcc
	v_mad_u64_u32 v[6:7], s[0:1], v5, v8, 0
	v_mad_u64_u32 v[8:9], s[0:1], v5, v4, 0
	v_add_co_u32_e32 v4, vcc, v10, v8
	v_addc_co_u32_e32 v4, vcc, v11, v9, vcc
	v_addc_co_u32_e32 v7, vcc, 0, v7, vcc
	v_add_co_u32_e32 v10, vcc, v4, v6
	v_addc_co_u32_e32 v11, vcc, 0, v7, vcc
	v_mad_u64_u32 v[6:7], s[0:1], s13, v10, 0
	v_mov_b32_e32 v4, v7
	v_mad_u64_u32 v[8:9], s[0:1], s13, v11, v[4:5]
	v_sub_co_u32_e32 v3, vcc, v3, v6
	v_subb_co_u32_e32 v4, vcc, v5, v8, vcc
	v_subrev_co_u32_e32 v5, vcc, s13, v3
	v_subbrev_co_u32_e32 v6, vcc, 0, v4, vcc
	v_cmp_le_u32_e32 vcc, s13, v5
	v_cndmask_b32_e64 v5, 0, -1, vcc
	v_cmp_eq_u32_e32 vcc, 0, v6
	v_cndmask_b32_e32 v5, -1, v5, vcc
	v_add_co_u32_e32 v6, vcc, 2, v10
	v_addc_co_u32_e32 v7, vcc, 0, v11, vcc
	v_add_co_u32_e32 v8, vcc, 1, v10
	v_cmp_le_u32_e64 s[0:1], s13, v3
	v_addc_co_u32_e32 v9, vcc, 0, v11, vcc
	v_cndmask_b32_e64 v3, 0, -1, s[0:1]
	v_cmp_eq_u32_e64 s[0:1], 0, v4
	v_cmp_ne_u32_e32 vcc, 0, v5
	v_cndmask_b32_e64 v3, -1, v3, s[0:1]
	v_cndmask_b32_e32 v5, v9, v7, vcc
	v_cmp_ne_u32_e64 s[0:1], 0, v3
	v_cndmask_b32_e32 v3, v8, v6, vcc
	v_cndmask_b32_e64 v7, v11, v5, s[0:1]
	v_cndmask_b32_e64 v6, v10, v3, s[0:1]
                                        ; implicit-def: $vgpr3
.LBB6_3:
	s_andn2_saveexec_b64 s[0:1], s[4:5]
	s_cbranch_execz .LBB6_5
; %bb.4:
	v_cvt_f32_u32_e32 v4, s13
	s_sub_i32 s4, 0, s13
	v_mov_b32_e32 v7, 0
	v_rcp_iflag_f32_e32 v4, v4
	v_mul_f32_e32 v4, 0x4f7ffffe, v4
	v_cvt_u32_f32_e32 v4, v4
	v_mul_lo_u32 v5, s4, v4
	v_mul_hi_u32 v5, v4, v5
	v_add_u32_e32 v4, v4, v5
	v_mul_hi_u32 v4, v3, v4
	v_mul_lo_u32 v5, v4, s13
	v_sub_u32_e32 v3, v3, v5
	v_add_u32_e32 v6, 1, v4
	v_subrev_u32_e32 v5, s13, v3
	v_cmp_le_u32_e32 vcc, s13, v3
	v_cndmask_b32_e32 v3, v3, v5, vcc
	v_cndmask_b32_e32 v4, v4, v6, vcc
	v_add_u32_e32 v5, 1, v4
	v_cmp_le_u32_e32 vcc, s13, v3
	v_cndmask_b32_e32 v6, v4, v5, vcc
.LBB6_5:
	s_or_b64 exec, exec, s[0:1]
	s_mul_i32 s0, s6, s3
	s_mul_hi_u32 s1, s6, s2
	s_add_i32 s1, s1, s0
	s_mul_i32 s0, s6, s2
	s_lshl_b64 s[4:5], s[0:1], 3
	s_add_u32 s17, s10, s4
	s_addc_u32 s21, s11, s5
	s_lshl_b64 s[4:5], s[2:3], 2
	v_add_co_u32_e32 v2, vcc, v6, v2
	s_add_u32 s11, s17, s4
	v_addc_co_u32_e32 v3, vcc, 0, v7, vcc
	s_addc_u32 s23, s21, s5
	s_lshl_b64 s[0:1], s[0:1], 2
	v_add_co_u32_e32 v2, vcc, 1, v2
	s_add_u32 s19, s8, s0
	v_addc_co_u32_e32 v3, vcc, 0, v3, vcc
	s_addc_u32 s9, s9, s1
	v_cmp_lt_u64_e32 vcc, 1, v[2:3]
	v_cmp_eq_u16_e64 s[0:1], s13, 1
	s_and_b64 s[6:7], vcc, s[0:1]
	s_mov_b64 s[0:1], -1
	s_and_saveexec_b64 s[4:5], s[6:7]
	s_cbranch_execz .LBB6_9
; %bb.6:
	v_and_b32_e32 v4, -2, v2
	v_mov_b32_e32 v5, v3
	s_mov_b32 s0, 0
	v_lshlrev_b32_e32 v6, 2, v0
	v_mov_b32_e32 v7, 0
	s_lshl_b32 s25, s13, 3
	s_mov_b64 s[6:7], 0
	v_mov_b32_e32 v9, s21
	v_mov_b32_e32 v11, s23
	s_mov_b32 s8, 0x3f3504f3
	s_brev_b32 s27, -2
	v_mov_b32_e32 v8, 0xb9c68948
	s_mov_b32 s10, 0x378e98ab
	s_mov_b32 s12, 0x3b7cd369
	;; [unrolled: 1-line block ×9, first 2 shown]
	v_mov_b32_e32 v16, 0x7f800000
	v_mov_b32_e32 v10, 0x3ba10414
	s_mov_b32 s22, 0xba1345e1
	s_mov_b32 s24, 0xbcdac9b8
	;; [unrolled: 1-line block ×5, first 2 shown]
	v_mov_b32_e32 v17, s9
	v_mov_b32_e32 v18, s0
	v_pk_mov_b32 v[12:13], v[4:5], v[4:5] op_sel:[0,1]
.LBB6_7:                                ; =>This Inner Loop Header: Depth=1
	v_add_co_u32_e32 v14, vcc, s17, v6
	v_addc_co_u32_e32 v15, vcc, v9, v7, vcc
	global_load_dwordx2 v[20:21], v[14:15], off
	v_add_co_u32_e32 v14, vcc, s11, v6
	v_addc_co_u32_e32 v15, vcc, v11, v7, vcc
	global_load_dwordx2 v[14:15], v[14:15], off
	v_add_co_u32_e32 v22, vcc, s19, v6
	v_addc_co_u32_e32 v23, vcc, v17, v7, vcc
	v_add_co_u32_e32 v12, vcc, -2, v12
	v_addc_co_u32_e32 v13, vcc, -1, v13, vcc
	v_add_co_u32_e32 v6, vcc, s25, v6
	v_addc_co_u32_e32 v7, vcc, v7, v18, vcc
	v_cmp_eq_u64_e32 vcc, 0, v[12:13]
	s_or_b64 s[6:7], vcc, s[6:7]
	s_waitcnt vmcnt(1)
	v_pk_mul_f32 v[24:25], v[20:21], s[8:9] op_sel_hi:[1,0]
	v_and_b32_e32 v27, 0x7fffffff, v25
	v_and_b32_e32 v26, 0x7fffffff, v24
	v_pk_mul_f32 v[28:29], v[24:25], v[24:25]
	v_pk_fma_f32 v[30:31], v[26:27], s[10:11], v[8:9] op_sel_hi:[1,0,0]
	v_pk_fma_f32 v[32:33], v[28:29], s[22:23], v[10:11] op_sel_hi:[1,0,0]
	;; [unrolled: 1-line block ×11, first 2 shown]
	v_pk_fma_f32 v[28:29], v[26:27], v[28:29], v[26:27]
	v_pk_fma_f32 v[26:27], v[26:27], v[30:31], v[26:27]
	v_mul_f32_e32 v19, 0xbfb8aa3b, v27
	v_mul_f32_e32 v30, 0xbfb8aa3b, v26
	v_fma_f32 v31, v27, s29, -v19
	v_rndne_f32_e32 v32, v19
	v_fma_f32 v33, v26, s29, -v30
	v_rndne_f32_e32 v34, v30
	v_fmac_f32_e32 v31, 0xb2a5705f, v27
	v_sub_f32_e32 v19, v19, v32
	v_fmac_f32_e32 v33, 0xb2a5705f, v26
	v_sub_f32_e32 v30, v30, v34
	v_add_f32_e32 v19, v19, v31
	v_add_f32_e32 v30, v30, v33
	v_cvt_i32_f32_e32 v32, v32
	v_cvt_i32_f32_e32 v34, v34
	v_exp_f32_e32 v19, v19
	v_exp_f32_e32 v30, v30
	v_cmp_nlt_f32_e32 vcc, s31, v26
	v_cmp_nlt_f32_e64 s[0:1], s31, v27
	v_ldexp_f32 v19, v19, v32
	v_ldexp_f32 v30, v30, v34
	v_cndmask_b32_e64 v19, 0, v19, s[0:1]
	v_cndmask_b32_e32 v30, 0, v30, vcc
	v_cmp_ngt_f32_e32 vcc, s33, v26
	v_cmp_ngt_f32_e64 s[0:1], s33, v27
	v_cndmask_b32_e64 v27, v16, v19, s[0:1]
	v_cndmask_b32_e32 v26, v16, v30, vcc
	v_pk_add_f32 v[26:27], v[26:27], 1.0 op_sel_hi:[1,0] neg_lo:[1,0] neg_hi:[1,0]
	v_cmp_nlt_f32_e64 vcc, |v25|, 1.0
	v_cmp_nlt_f32_e64 s[0:1], |v24|, 1.0
	v_cndmask_b32_e64 v19, v28, v26, s[0:1]
	v_cndmask_b32_e32 v26, v29, v27, vcc
	v_bfi_b32 v25, s27, v26, v25
	v_bfi_b32 v24, s27, v19, v24
	v_pk_mul_f32 v[20:21], v[20:21], 0.5 op_sel_hi:[1,0]
	v_pk_add_f32 v[24:25], v[24:25], 1.0 op_sel_hi:[1,0]
	v_pk_mul_f32 v[20:21], v[20:21], v[24:25]
	s_waitcnt vmcnt(0)
	v_pk_mul_f32 v[14:15], v[14:15], v[20:21]
	global_store_dwordx2 v[22:23], v[14:15], off
	s_andn2_b64 exec, exec, s[6:7]
	s_cbranch_execnz .LBB6_7
; %bb.8:
	s_or_b64 exec, exec, s[6:7]
	v_mad_u64_u32 v[0:1], s[0:1], v4, s13, v[0:1]
	v_mov_b32_e32 v6, v1
	v_mad_u64_u32 v[6:7], s[0:1], v5, s13, v[6:7]
	v_cmp_ne_u64_e32 vcc, v[2:3], v[4:5]
	v_mov_b32_e32 v1, v6
	s_orn2_b64 s[0:1], vcc, exec
.LBB6_9:
	s_or_b64 exec, exec, s[4:5]
	s_and_b64 exec, exec, s[0:1]
	s_cbranch_execz .LBB6_16
; %bb.10:
	s_mov_b32 s4, 0
	v_lshlrev_b64 v[2:3], 2, v[0:1]
	s_lshl_b32 s6, s13, 2
	s_mov_b64 s[0:1], 0
	v_mov_b32_e32 v4, s21
	v_mov_b32_e32 v5, s23
	s_mov_b32 s7, 0x378e98ab
	s_mov_b32 s8, 0x3b7cd369
	;; [unrolled: 1-line block ×9, first 2 shown]
	v_mov_b32_e32 v6, 0xbcdac9b8
	v_mov_b32_e32 v7, 0x3de703be
	;; [unrolled: 1-line block ×4, first 2 shown]
	s_brev_b32 s22, -2
	v_mov_b32_e32 v10, s9
	v_mov_b32_e32 v11, s15
	;; [unrolled: 1-line block ×5, first 2 shown]
	s_branch .LBB6_12
.LBB6_11:                               ;   in Loop: Header=BB6_12 Depth=1
	s_or_b64 exec, exec, s[4:5]
	v_bfi_b32 v17, s22, v18, v17
	v_mul_f32_e32 v15, 0.5, v15
	v_add_f32_e32 v17, 1.0, v17
	v_mul_f32_e32 v15, v15, v17
	s_waitcnt vmcnt(0)
	v_mul_f32_e32 v15, v16, v15
	v_add_co_u32_e32 v16, vcc, s19, v2
	v_addc_co_u32_e32 v17, vcc, v10, v3, vcc
	v_add_co_u32_e32 v0, vcc, s13, v0
	v_addc_co_u32_e32 v1, vcc, v1, v11, vcc
	v_cmp_le_i64_e32 vcc, s[2:3], v[0:1]
	s_or_b64 s[0:1], vcc, s[0:1]
	v_add_co_u32_e32 v2, vcc, s6, v2
	v_addc_co_u32_e32 v3, vcc, v3, v12, vcc
	global_store_dword v[16:17], v15, off
	s_andn2_b64 exec, exec, s[0:1]
	s_cbranch_execz .LBB6_16
.LBB6_12:                               ; =>This Inner Loop Header: Depth=1
	v_add_co_u32_e32 v16, vcc, s17, v2
	v_addc_co_u32_e32 v17, vcc, v4, v3, vcc
	global_load_dword v15, v[16:17], off
	v_add_co_u32_e32 v16, vcc, s11, v2
	v_addc_co_u32_e32 v17, vcc, v5, v3, vcc
	global_load_dword v16, v[16:17], off
                                        ; implicit-def: $vgpr18
	s_waitcnt vmcnt(1)
	v_mul_f32_e32 v17, 0x3f3504f3, v15
	v_cmp_nlt_f32_e64 s[4:5], |v17|, 1.0
	s_and_saveexec_b64 s[24:25], s[4:5]
	s_xor_b64 s[4:5], exec, s[24:25]
	s_cbranch_execz .LBB6_14
; %bb.13:                               ;   in Loop: Header=BB6_12 Depth=1
	v_fma_f32 v18, |v17|, s7, v13
	v_fma_f32 v18, |v17|, v18, s8
	;; [unrolled: 1-line block ×6, first 2 shown]
	v_fma_f32 v18, |v17|, v18, |v17|
	v_mul_f32_e32 v19, 0xbfb8aa3b, v18
	v_fma_f32 v20, v18, s18, -v19
	v_rndne_f32_e32 v21, v19
	v_fmac_f32_e32 v20, 0xb2a5705f, v18
	v_sub_f32_e32 v19, v19, v21
	v_add_f32_e32 v19, v19, v20
	v_cvt_i32_f32_e32 v20, v21
	v_exp_f32_e32 v19, v19
	v_cmp_nlt_f32_e32 vcc, s20, v18
	v_ldexp_f32 v19, v19, v20
	v_cndmask_b32_e32 v19, 0, v19, vcc
	v_cmp_ngt_f32_e32 vcc, s21, v18
	v_cndmask_b32_e32 v18, v14, v19, vcc
	v_sub_f32_e32 v18, 1.0, v18
.LBB6_14:                               ;   in Loop: Header=BB6_12 Depth=1
	s_andn2_saveexec_b64 s[4:5], s[4:5]
	s_cbranch_execz .LBB6_11
; %bb.15:                               ;   in Loop: Header=BB6_12 Depth=1
	v_mul_f32_e32 v18, v17, v17
	v_mov_b32_e32 v19, 0x3ba10414
	v_fmac_f32_e32 v19, 0xba1345e1, v18
	v_fma_f32 v19, v18, v19, v6
	v_fma_f32 v19, v18, v19, v7
	;; [unrolled: 1-line block ×4, first 2 shown]
	v_fma_f32 v18, |v17|, v18, |v17|
	s_branch .LBB6_11
.LBB6_16:
	s_endpgm
	.section	.rodata,"a",@progbits
	.p2align	6, 0x0
	.amdhsa_kernel _ZN4vllm18act_and_mul_kernelIfTnPFT_RKS1_EXadL_ZNS_11gelu_kernelIfEES1_S3_EELb1EEEvPS1_PS2_i
		.amdhsa_group_segment_fixed_size 0
		.amdhsa_private_segment_fixed_size 0
		.amdhsa_kernarg_size 280
		.amdhsa_user_sgpr_count 6
		.amdhsa_user_sgpr_private_segment_buffer 1
		.amdhsa_user_sgpr_dispatch_ptr 0
		.amdhsa_user_sgpr_queue_ptr 0
		.amdhsa_user_sgpr_kernarg_segment_ptr 1
		.amdhsa_user_sgpr_dispatch_id 0
		.amdhsa_user_sgpr_flat_scratch_init 0
		.amdhsa_user_sgpr_kernarg_preload_length 0
		.amdhsa_user_sgpr_kernarg_preload_offset 0
		.amdhsa_user_sgpr_private_segment_size 0
		.amdhsa_uses_dynamic_stack 0
		.amdhsa_system_sgpr_private_segment_wavefront_offset 0
		.amdhsa_system_sgpr_workgroup_id_x 1
		.amdhsa_system_sgpr_workgroup_id_y 0
		.amdhsa_system_sgpr_workgroup_id_z 0
		.amdhsa_system_sgpr_workgroup_info 0
		.amdhsa_system_vgpr_workitem_id 0
		.amdhsa_next_free_vgpr 35
		.amdhsa_next_free_sgpr 34
		.amdhsa_accum_offset 36
		.amdhsa_reserve_vcc 1
		.amdhsa_reserve_flat_scratch 0
		.amdhsa_float_round_mode_32 0
		.amdhsa_float_round_mode_16_64 0
		.amdhsa_float_denorm_mode_32 3
		.amdhsa_float_denorm_mode_16_64 3
		.amdhsa_dx10_clamp 1
		.amdhsa_ieee_mode 1
		.amdhsa_fp16_overflow 0
		.amdhsa_tg_split 0
		.amdhsa_exception_fp_ieee_invalid_op 0
		.amdhsa_exception_fp_denorm_src 0
		.amdhsa_exception_fp_ieee_div_zero 0
		.amdhsa_exception_fp_ieee_overflow 0
		.amdhsa_exception_fp_ieee_underflow 0
		.amdhsa_exception_fp_ieee_inexact 0
		.amdhsa_exception_int_div_zero 0
	.end_amdhsa_kernel
	.section	.text._ZN4vllm18act_and_mul_kernelIfTnPFT_RKS1_EXadL_ZNS_11gelu_kernelIfEES1_S3_EELb1EEEvPS1_PS2_i,"axG",@progbits,_ZN4vllm18act_and_mul_kernelIfTnPFT_RKS1_EXadL_ZNS_11gelu_kernelIfEES1_S3_EELb1EEEvPS1_PS2_i,comdat
.Lfunc_end6:
	.size	_ZN4vllm18act_and_mul_kernelIfTnPFT_RKS1_EXadL_ZNS_11gelu_kernelIfEES1_S3_EELb1EEEvPS1_PS2_i, .Lfunc_end6-_ZN4vllm18act_and_mul_kernelIfTnPFT_RKS1_EXadL_ZNS_11gelu_kernelIfEES1_S3_EELb1EEEvPS1_PS2_i
                                        ; -- End function
	.section	.AMDGPU.csdata,"",@progbits
; Kernel info:
; codeLenInByte = 2108
; NumSgprs: 38
; NumVgprs: 35
; NumAgprs: 0
; TotalNumVgprs: 35
; ScratchSize: 0
; MemoryBound: 0
; FloatMode: 240
; IeeeMode: 1
; LDSByteSize: 0 bytes/workgroup (compile time only)
; SGPRBlocks: 4
; VGPRBlocks: 4
; NumSGPRsForWavesPerEU: 38
; NumVGPRsForWavesPerEU: 35
; AccumOffset: 36
; Occupancy: 8
; WaveLimiterHint : 0
; COMPUTE_PGM_RSRC2:SCRATCH_EN: 0
; COMPUTE_PGM_RSRC2:USER_SGPR: 6
; COMPUTE_PGM_RSRC2:TRAP_HANDLER: 0
; COMPUTE_PGM_RSRC2:TGID_X_EN: 1
; COMPUTE_PGM_RSRC2:TGID_Y_EN: 0
; COMPUTE_PGM_RSRC2:TGID_Z_EN: 0
; COMPUTE_PGM_RSRC2:TIDIG_COMP_CNT: 0
; COMPUTE_PGM_RSRC3_GFX90A:ACCUM_OFFSET: 8
; COMPUTE_PGM_RSRC3_GFX90A:TG_SPLIT: 0
	.section	.text._ZN4vllm18act_and_mul_kernelIN3c104HalfETnPFT_RKS3_EXadL_ZNS_11gelu_kernelIS2_EES3_S5_EELb1EEEvPS3_PS4_i,"axG",@progbits,_ZN4vllm18act_and_mul_kernelIN3c104HalfETnPFT_RKS3_EXadL_ZNS_11gelu_kernelIS2_EES3_S5_EELb1EEEvPS3_PS4_i,comdat
	.protected	_ZN4vllm18act_and_mul_kernelIN3c104HalfETnPFT_RKS3_EXadL_ZNS_11gelu_kernelIS2_EES3_S5_EELb1EEEvPS3_PS4_i ; -- Begin function _ZN4vllm18act_and_mul_kernelIN3c104HalfETnPFT_RKS3_EXadL_ZNS_11gelu_kernelIS2_EES3_S5_EELb1EEEvPS3_PS4_i
	.globl	_ZN4vllm18act_and_mul_kernelIN3c104HalfETnPFT_RKS3_EXadL_ZNS_11gelu_kernelIS2_EES3_S5_EELb1EEEvPS3_PS4_i
	.p2align	8
	.type	_ZN4vllm18act_and_mul_kernelIN3c104HalfETnPFT_RKS3_EXadL_ZNS_11gelu_kernelIS2_EES3_S5_EELb1EEEvPS3_PS4_i,@function
_ZN4vllm18act_and_mul_kernelIN3c104HalfETnPFT_RKS3_EXadL_ZNS_11gelu_kernelIS2_EES3_S5_EELb1EEEvPS3_PS4_i: ; @_ZN4vllm18act_and_mul_kernelIN3c104HalfETnPFT_RKS3_EXadL_ZNS_11gelu_kernelIS2_EES3_S5_EELb1EEEvPS3_PS4_i
; %bb.0:
	s_load_dword s12, s[4:5], 0x10
	s_waitcnt lgkmcnt(0)
	v_cmp_gt_i32_e32 vcc, s12, v0
	s_and_saveexec_b64 s[0:1], vcc
	s_cbranch_execz .LBB7_16
; %bb.1:
	s_load_dword s0, s[4:5], 0x24
	s_load_dwordx4 s[8:11], s[4:5], 0x0
	s_ashr_i32 s13, s12, 31
	v_mov_b32_e32 v2, s13
	v_mov_b32_e32 v1, 0
	s_waitcnt lgkmcnt(0)
	s_and_b32 s15, s0, 0xffff
	v_add_co_u32_e32 v4, vcc, s15, v0
	v_addc_co_u32_e64 v5, s[0:1], 0, 0, vcc
	v_cmp_lt_i64_e32 vcc, s[12:13], v[4:5]
	v_cndmask_b32_e32 v6, v2, v5, vcc
	v_mov_b32_e32 v2, s12
	v_cndmask_b32_e32 v3, v2, v4, vcc
	v_cmp_gt_i64_e32 vcc, s[12:13], v[4:5]
	v_cndmask_b32_e64 v2, 0, 1, vcc
	v_add_co_u32_e32 v4, vcc, v4, v2
	v_addc_co_u32_e32 v5, vcc, 0, v5, vcc
	v_sub_co_u32_e32 v3, vcc, v3, v4
	v_subb_co_u32_e32 v5, vcc, v6, v5, vcc
	v_mov_b32_e32 v4, v1
	s_mov_b32 s17, 0
	v_cmp_ne_u64_e32 vcc, 0, v[4:5]
                                        ; implicit-def: $vgpr6_vgpr7
	s_and_saveexec_b64 s[0:1], vcc
	s_xor_b64 s[2:3], exec, s[0:1]
	s_cbranch_execz .LBB7_3
; %bb.2:
	v_cvt_f32_u32_e32 v4, s15
	v_mov_b32_e32 v6, 0x4f800000
	s_sub_u32 s0, 0, s15
	s_subb_u32 s1, 0, 0
	v_mac_f32_e32 v4, 0, v6
	v_rcp_f32_e32 v4, v4
	v_mul_f32_e32 v4, 0x5f7ffffc, v4
	v_mul_f32_e32 v6, 0x2f800000, v4
	v_trunc_f32_e32 v6, v6
	v_madmk_f32 v4, v6, 0xcf800000, v4
	v_cvt_u32_f32_e32 v6, v6
	v_cvt_u32_f32_e32 v4, v4
	v_mul_lo_u32 v7, s0, v6
	v_mul_hi_u32 v9, s0, v4
	v_mul_lo_u32 v8, s1, v4
	v_add_u32_e32 v7, v9, v7
	v_mul_lo_u32 v10, s0, v4
	v_add_u32_e32 v7, v7, v8
	v_mul_hi_u32 v9, v4, v10
	v_mul_lo_u32 v11, v4, v7
	v_mul_hi_u32 v8, v4, v7
	v_add_co_u32_e32 v9, vcc, v9, v11
	v_addc_co_u32_e32 v8, vcc, 0, v8, vcc
	v_mul_hi_u32 v12, v6, v10
	v_mul_lo_u32 v10, v6, v10
	v_add_co_u32_e32 v9, vcc, v9, v10
	v_mul_hi_u32 v11, v6, v7
	v_addc_co_u32_e32 v8, vcc, v8, v12, vcc
	v_addc_co_u32_e32 v9, vcc, 0, v11, vcc
	v_mul_lo_u32 v7, v6, v7
	v_add_co_u32_e32 v7, vcc, v8, v7
	v_addc_co_u32_e32 v8, vcc, 0, v9, vcc
	v_add_co_u32_e32 v4, vcc, v4, v7
	v_addc_co_u32_e32 v6, vcc, v6, v8, vcc
	v_mul_lo_u32 v7, s0, v6
	v_mul_hi_u32 v8, s0, v4
	v_add_u32_e32 v7, v8, v7
	v_mul_lo_u32 v8, s1, v4
	v_add_u32_e32 v7, v7, v8
	v_mul_lo_u32 v9, s0, v4
	v_mul_hi_u32 v10, v6, v9
	v_mul_lo_u32 v11, v6, v9
	v_mul_lo_u32 v13, v4, v7
	v_mul_hi_u32 v9, v4, v9
	v_mul_hi_u32 v12, v4, v7
	v_add_co_u32_e32 v9, vcc, v9, v13
	v_addc_co_u32_e32 v12, vcc, 0, v12, vcc
	v_add_co_u32_e32 v9, vcc, v9, v11
	v_mul_hi_u32 v8, v6, v7
	v_addc_co_u32_e32 v9, vcc, v12, v10, vcc
	v_addc_co_u32_e32 v8, vcc, 0, v8, vcc
	v_mul_lo_u32 v7, v6, v7
	v_add_co_u32_e32 v7, vcc, v9, v7
	v_addc_co_u32_e32 v8, vcc, 0, v8, vcc
	v_add_co_u32_e32 v4, vcc, v4, v7
	v_addc_co_u32_e32 v8, vcc, v6, v8, vcc
	v_mad_u64_u32 v[6:7], s[0:1], v3, v8, 0
	v_mul_hi_u32 v9, v3, v4
	v_add_co_u32_e32 v10, vcc, v9, v6
	v_addc_co_u32_e32 v11, vcc, 0, v7, vcc
	v_mad_u64_u32 v[6:7], s[0:1], v5, v8, 0
	v_mad_u64_u32 v[8:9], s[0:1], v5, v4, 0
	v_add_co_u32_e32 v4, vcc, v10, v8
	v_addc_co_u32_e32 v4, vcc, v11, v9, vcc
	v_addc_co_u32_e32 v7, vcc, 0, v7, vcc
	v_add_co_u32_e32 v10, vcc, v4, v6
	v_addc_co_u32_e32 v11, vcc, 0, v7, vcc
	v_mad_u64_u32 v[6:7], s[0:1], s15, v10, 0
	v_mov_b32_e32 v4, v7
	v_mad_u64_u32 v[8:9], s[0:1], s15, v11, v[4:5]
	v_sub_co_u32_e32 v3, vcc, v3, v6
	v_subb_co_u32_e32 v4, vcc, v5, v8, vcc
	v_subrev_co_u32_e32 v5, vcc, s15, v3
	v_subbrev_co_u32_e32 v6, vcc, 0, v4, vcc
	v_cmp_le_u32_e32 vcc, s15, v5
	v_cndmask_b32_e64 v5, 0, -1, vcc
	v_cmp_eq_u32_e32 vcc, 0, v6
	v_cndmask_b32_e32 v5, -1, v5, vcc
	v_add_co_u32_e32 v6, vcc, 2, v10
	v_addc_co_u32_e32 v7, vcc, 0, v11, vcc
	v_add_co_u32_e32 v8, vcc, 1, v10
	v_cmp_le_u32_e64 s[0:1], s15, v3
	v_addc_co_u32_e32 v9, vcc, 0, v11, vcc
	v_cndmask_b32_e64 v3, 0, -1, s[0:1]
	v_cmp_eq_u32_e64 s[0:1], 0, v4
	v_cmp_ne_u32_e32 vcc, 0, v5
	v_cndmask_b32_e64 v3, -1, v3, s[0:1]
	v_cndmask_b32_e32 v5, v9, v7, vcc
	v_cmp_ne_u32_e64 s[0:1], 0, v3
	v_cndmask_b32_e32 v3, v8, v6, vcc
	v_cndmask_b32_e64 v7, v11, v5, s[0:1]
	v_cndmask_b32_e64 v6, v10, v3, s[0:1]
                                        ; implicit-def: $vgpr3
.LBB7_3:
	s_andn2_saveexec_b64 s[0:1], s[2:3]
	s_cbranch_execz .LBB7_5
; %bb.4:
	v_cvt_f32_u32_e32 v4, s15
	s_sub_i32 s2, 0, s15
	v_mov_b32_e32 v7, 0
	v_rcp_iflag_f32_e32 v4, v4
	v_mul_f32_e32 v4, 0x4f7ffffe, v4
	v_cvt_u32_f32_e32 v4, v4
	v_mul_lo_u32 v5, s2, v4
	v_mul_hi_u32 v5, v4, v5
	v_add_u32_e32 v4, v4, v5
	v_mul_hi_u32 v4, v3, v4
	v_mul_lo_u32 v5, v4, s15
	v_sub_u32_e32 v3, v3, v5
	v_add_u32_e32 v6, 1, v4
	v_subrev_u32_e32 v5, s15, v3
	v_cmp_le_u32_e32 vcc, s15, v3
	v_cndmask_b32_e32 v3, v3, v5, vcc
	v_cndmask_b32_e32 v4, v4, v6, vcc
	v_add_u32_e32 v5, 1, v4
	v_cmp_le_u32_e32 vcc, s15, v3
	v_cndmask_b32_e32 v6, v4, v5, vcc
.LBB7_5:
	s_or_b64 exec, exec, s[0:1]
	s_mul_i32 s0, s6, s13
	s_mul_hi_u32 s1, s6, s12
	s_add_i32 s1, s1, s0
	s_mul_i32 s0, s6, s12
	s_lshl_b64 s[2:3], s[0:1], 2
	s_add_u32 s19, s10, s2
	s_addc_u32 s27, s11, s3
	s_lshl_b64 s[2:3], s[12:13], 1
	v_add_co_u32_e32 v2, vcc, v6, v2
	s_add_u32 s21, s19, s2
	v_addc_co_u32_e32 v3, vcc, 0, v7, vcc
	s_addc_u32 s29, s27, s3
	s_lshl_b64 s[0:1], s[0:1], 1
	v_add_co_u32_e32 v2, vcc, 1, v2
	s_add_u32 s23, s8, s0
	v_addc_co_u32_e32 v3, vcc, 0, v3, vcc
	s_addc_u32 s25, s9, s1
	v_cmp_lt_u64_e32 vcc, 3, v[2:3]
	v_cmp_eq_u16_e64 s[0:1], s15, 1
	s_and_b64 s[2:3], vcc, s[0:1]
	s_mov_b64 s[0:1], -1
	s_and_saveexec_b64 s[8:9], s[2:3]
	s_cbranch_execz .LBB7_9
; %bb.6:
	s_mov_b32 s1, 0
	s_mov_b32 s0, 0xb9c68948
	v_and_b32_e32 v4, -4, v2
	v_mov_b32_e32 v5, v3
	v_pk_mov_b32 v[8:9], s[0:1], s[0:1] op_sel:[0,1]
	s_mov_b32 s0, 0x3ba10414
	v_lshlrev_b32_e32 v6, 1, v0
	v_mov_b32_e32 v7, 0
	s_lshl_b32 s31, s15, 3
	s_mov_b64 s[10:11], 0
	v_mov_b32_e32 v20, s27
	v_mov_b32_e32 v21, s29
	s_mov_b32 s14, 0x3f3504f3
	s_brev_b32 s33, -2
	s_mov_b32 s16, 0x378e98ab
	s_mov_b32 s18, 0x3b7cd369
	;; [unrolled: 1-line block ×9, first 2 shown]
	v_mov_b32_e32 v22, 0x7f800000
	s_mov_b32 s28, 0xba1345e1
	v_pk_mov_b32 v[10:11], s[0:1], s[0:1] op_sel:[0,1]
	s_mov_b32 s30, 0xbcdac9b8
	s_mov_b32 s34, 0x3de703be
	;; [unrolled: 1-line block ×4, first 2 shown]
	v_mov_b32_e32 v23, s25
	v_mov_b32_e32 v24, s1
	v_pk_mov_b32 v[12:13], v[4:5], v[4:5] op_sel:[0,1]
.LBB7_7:                                ; =>This Inner Loop Header: Depth=1
	v_add_co_u32_e32 v14, vcc, s19, v6
	v_addc_co_u32_e32 v15, vcc, v20, v7, vcc
	v_add_co_u32_e32 v16, vcc, s21, v6
	v_addc_co_u32_e32 v17, vcc, v21, v7, vcc
	global_load_dwordx2 v[26:27], v[14:15], off
	global_load_dwordx2 v[28:29], v[16:17], off
	v_add_co_u32_e32 v18, vcc, s23, v6
	v_addc_co_u32_e32 v19, vcc, v23, v7, vcc
	v_add_co_u32_e32 v12, vcc, -4, v12
	v_addc_co_u32_e32 v13, vcc, -1, v13, vcc
	v_add_co_u32_e32 v6, vcc, s31, v6
	v_addc_co_u32_e32 v7, vcc, v7, v24, vcc
	v_cmp_eq_u64_e32 vcc, 0, v[12:13]
	s_or_b64 s[10:11], vcc, s[10:11]
	s_waitcnt vmcnt(1)
	v_cvt_f32_f16_e32 v14, v26
	v_cvt_f32_f16_e32 v16, v27
	v_cvt_f32_f16_sdwa v17, v27 dst_sel:DWORD dst_unused:UNUSED_PAD src0_sel:WORD_1
	v_cvt_f32_f16_sdwa v15, v26 dst_sel:DWORD dst_unused:UNUSED_PAD src0_sel:WORD_1
	v_pk_mul_f32 v[26:27], v[16:17], s[14:15] op_sel_hi:[1,0]
	v_pk_mul_f32 v[30:31], v[14:15], s[14:15] op_sel_hi:[1,0]
	v_and_b32_e32 v33, 0x7fffffff, v31
	v_and_b32_e32 v32, 0x7fffffff, v30
	;; [unrolled: 1-line block ×4, first 2 shown]
	v_pk_mul_f32 v[36:37], v[26:27], v[26:27]
	v_pk_mul_f32 v[38:39], v[30:31], v[30:31]
	v_pk_fma_f32 v[40:41], v[32:33], s[16:17], v[8:9] op_sel_hi:[1,0,0]
	v_pk_fma_f32 v[42:43], v[34:35], s[16:17], v[8:9] op_sel_hi:[1,0,0]
	;; [unrolled: 1-line block ×22, first 2 shown]
	v_pk_fma_f32 v[36:37], v[34:35], v[36:37], v[34:35]
	v_pk_fma_f32 v[38:39], v[32:33], v[38:39], v[32:33]
	;; [unrolled: 1-line block ×4, first 2 shown]
	v_mul_f32_e32 v25, 0xbfb8aa3b, v32
	v_mul_f32_e32 v40, 0xbfb8aa3b, v33
	;; [unrolled: 1-line block ×4, first 2 shown]
	v_fma_f32 v43, v32, s35, -v25
	v_rndne_f32_e32 v44, v25
	v_fma_f32 v45, v33, s35, -v40
	v_rndne_f32_e32 v46, v40
	;; [unrolled: 2-line block ×4, first 2 shown]
	v_fmac_f32_e32 v43, 0xb2a5705f, v32
	v_sub_f32_e32 v25, v25, v44
	v_fmac_f32_e32 v45, 0xb2a5705f, v33
	v_sub_f32_e32 v40, v40, v46
	;; [unrolled: 2-line block ×4, first 2 shown]
	v_add_f32_e32 v25, v25, v43
	v_add_f32_e32 v40, v40, v45
	;; [unrolled: 1-line block ×4, first 2 shown]
	v_cvt_i32_f32_e32 v44, v44
	v_cvt_i32_f32_e32 v46, v46
	;; [unrolled: 1-line block ×4, first 2 shown]
	v_exp_f32_e32 v25, v25
	v_exp_f32_e32 v40, v40
	;; [unrolled: 1-line block ×4, first 2 shown]
	v_ldexp_f32 v25, v25, v44
	v_ldexp_f32 v40, v40, v46
	v_cmp_nlt_f32_e64 s[0:1], s37, v33
	v_ldexp_f32 v41, v41, v48
	v_cmp_nlt_f32_e64 s[2:3], s37, v34
	v_ldexp_f32 v42, v42, v50
	v_cmp_nlt_f32_e64 s[4:5], s37, v35
	v_cmp_nlt_f32_e64 s[6:7], s37, v32
	v_cndmask_b32_e64 v25, 0, v25, s[6:7]
	v_cndmask_b32_e64 v40, 0, v40, s[0:1]
	v_cmp_ngt_f32_e64 s[0:1], s39, v33
	v_cndmask_b32_e64 v33, 0, v41, s[2:3]
	v_cmp_ngt_f32_e64 s[2:3], s39, v34
	;; [unrolled: 2-line block ×3, first 2 shown]
	v_cmp_ngt_f32_e64 s[6:7], s39, v32
	v_cndmask_b32_e64 v25, v22, v25, s[6:7]
	v_cndmask_b32_e64 v32, v22, v40, s[0:1]
	;; [unrolled: 1-line block ×4, first 2 shown]
	v_sub_f32_e32 v34, 1.0, v34
	v_cmp_nlt_f32_e64 s[0:1], |v27|, 1.0
	v_sub_f32_e32 v33, 1.0, v33
	v_cmp_nlt_f32_e64 s[2:3], |v26|, 1.0
	;; [unrolled: 2-line block ×4, first 2 shown]
	v_cndmask_b32_e64 v25, v38, v25, s[6:7]
	v_cndmask_b32_e64 v32, v39, v32, s[4:5]
	;; [unrolled: 1-line block ×4, first 2 shown]
	v_bfi_b32 v27, s33, v34, v27
	v_bfi_b32 v26, s33, v33, v26
	;; [unrolled: 1-line block ×4, first 2 shown]
	v_pk_mul_f32 v[14:15], v[14:15], 0.5 op_sel_hi:[1,0]
	v_pk_mul_f32 v[16:17], v[16:17], 0.5 op_sel_hi:[1,0]
	v_pk_add_f32 v[30:31], v[30:31], 1.0 op_sel_hi:[1,0]
	v_pk_add_f32 v[26:27], v[26:27], 1.0 op_sel_hi:[1,0]
	v_pk_mul_f32 v[16:17], v[16:17], v[26:27]
	v_pk_mul_f32 v[14:15], v[14:15], v[30:31]
	v_cvt_f16_f32_e32 v15, v15
	v_cvt_f16_f32_e32 v17, v17
	;; [unrolled: 1-line block ×4, first 2 shown]
	v_pack_b32_f16 v16, v16, v17
	v_pack_b32_f16 v14, v14, v15
	s_waitcnt vmcnt(0)
	v_pk_mul_f16 v15, v29, v16
	v_pk_mul_f16 v14, v28, v14
	global_store_dwordx2 v[18:19], v[14:15], off
	s_andn2_b64 exec, exec, s[10:11]
	s_cbranch_execnz .LBB7_7
; %bb.8:
	s_or_b64 exec, exec, s[10:11]
	v_mad_u64_u32 v[0:1], s[0:1], v4, s15, v[0:1]
	v_mov_b32_e32 v6, v1
	v_mad_u64_u32 v[6:7], s[0:1], v5, s15, v[6:7]
	v_cmp_ne_u64_e32 vcc, v[2:3], v[4:5]
	v_mov_b32_e32 v1, v6
	s_orn2_b64 s[0:1], vcc, exec
.LBB7_9:
	s_or_b64 exec, exec, s[8:9]
	s_and_b64 exec, exec, s[0:1]
	s_cbranch_execz .LBB7_16
; %bb.10:
	s_mov_b32 s2, 0
	v_lshlrev_b64 v[2:3], 1, v[0:1]
	s_lshl_b32 s4, s15, 1
	s_mov_b64 s[0:1], 0
	v_mov_b32_e32 v4, s27
	v_mov_b32_e32 v5, s29
	s_mov_b32 s5, 0x378e98ab
	s_mov_b32 s6, 0x3b7cd369
	;; [unrolled: 1-line block ×9, first 2 shown]
	v_mov_b32_e32 v6, 0xbcdac9b8
	v_mov_b32_e32 v7, 0x3de703be
	;; [unrolled: 1-line block ×4, first 2 shown]
	s_brev_b32 s18, -2
	v_mov_b32_e32 v10, s25
	v_mov_b32_e32 v11, s17
	;; [unrolled: 1-line block ×5, first 2 shown]
	s_branch .LBB7_12
.LBB7_11:                               ;   in Loop: Header=BB7_12 Depth=1
	s_or_b64 exec, exec, s[2:3]
	v_bfi_b32 v17, s18, v18, v17
	v_mul_f32_e32 v16, 0.5, v16
	v_add_f32_e32 v17, 1.0, v17
	v_fma_mixlo_f16 v16, v16, v17, 0
	s_waitcnt vmcnt(0)
	v_mul_f16_e32 v15, v15, v16
	v_add_co_u32_e32 v16, vcc, s23, v2
	v_addc_co_u32_e32 v17, vcc, v10, v3, vcc
	v_add_co_u32_e32 v0, vcc, s15, v0
	v_addc_co_u32_e32 v1, vcc, v1, v11, vcc
	v_cmp_le_i64_e32 vcc, s[12:13], v[0:1]
	s_or_b64 s[0:1], vcc, s[0:1]
	v_add_co_u32_e32 v2, vcc, s4, v2
	v_addc_co_u32_e32 v3, vcc, v3, v12, vcc
	global_store_short v[16:17], v15, off
	s_andn2_b64 exec, exec, s[0:1]
	s_cbranch_execz .LBB7_16
.LBB7_12:                               ; =>This Inner Loop Header: Depth=1
	v_add_co_u32_e32 v16, vcc, s19, v2
	v_addc_co_u32_e32 v17, vcc, v4, v3, vcc
	global_load_ushort v18, v[16:17], off
	v_add_co_u32_e32 v16, vcc, s21, v2
	v_addc_co_u32_e32 v17, vcc, v5, v3, vcc
	global_load_ushort v15, v[16:17], off
	s_waitcnt vmcnt(1)
	v_cvt_f32_f16_e32 v16, v18
                                        ; implicit-def: $vgpr18
	v_mul_f32_e32 v17, 0x3f3504f3, v16
	v_cmp_nlt_f32_e64 s[2:3], |v17|, 1.0
	s_and_saveexec_b64 s[24:25], s[2:3]
	s_xor_b64 s[2:3], exec, s[24:25]
	s_cbranch_execz .LBB7_14
; %bb.13:                               ;   in Loop: Header=BB7_12 Depth=1
	v_fma_f32 v18, |v17|, s5, v13
	v_fma_f32 v18, |v17|, v18, s6
	;; [unrolled: 1-line block ×6, first 2 shown]
	v_fma_f32 v18, |v17|, v18, |v17|
	v_mul_f32_e32 v19, 0xbfb8aa3b, v18
	v_fma_f32 v20, v18, s11, -v19
	v_rndne_f32_e32 v21, v19
	v_fmac_f32_e32 v20, 0xb2a5705f, v18
	v_sub_f32_e32 v19, v19, v21
	v_add_f32_e32 v19, v19, v20
	v_cvt_i32_f32_e32 v20, v21
	v_exp_f32_e32 v19, v19
	v_cmp_nlt_f32_e32 vcc, s14, v18
	v_ldexp_f32 v19, v19, v20
	v_cndmask_b32_e32 v19, 0, v19, vcc
	v_cmp_ngt_f32_e32 vcc, s16, v18
	v_cndmask_b32_e32 v18, v14, v19, vcc
	v_sub_f32_e32 v18, 1.0, v18
.LBB7_14:                               ;   in Loop: Header=BB7_12 Depth=1
	s_andn2_saveexec_b64 s[2:3], s[2:3]
	s_cbranch_execz .LBB7_11
; %bb.15:                               ;   in Loop: Header=BB7_12 Depth=1
	v_mul_f32_e32 v18, v17, v17
	v_mov_b32_e32 v19, 0x3ba10414
	v_fmac_f32_e32 v19, 0xba1345e1, v18
	v_fma_f32 v19, v18, v19, v6
	v_fma_f32 v19, v18, v19, v7
	v_fma_f32 v19, v18, v19, v8
	v_fma_f32 v18, v18, v19, v9
	v_fma_f32 v18, |v17|, v18, |v17|
	s_branch .LBB7_11
.LBB7_16:
	s_endpgm
	.section	.rodata,"a",@progbits
	.p2align	6, 0x0
	.amdhsa_kernel _ZN4vllm18act_and_mul_kernelIN3c104HalfETnPFT_RKS3_EXadL_ZNS_11gelu_kernelIS2_EES3_S5_EELb1EEEvPS3_PS4_i
		.amdhsa_group_segment_fixed_size 0
		.amdhsa_private_segment_fixed_size 0
		.amdhsa_kernarg_size 280
		.amdhsa_user_sgpr_count 6
		.amdhsa_user_sgpr_private_segment_buffer 1
		.amdhsa_user_sgpr_dispatch_ptr 0
		.amdhsa_user_sgpr_queue_ptr 0
		.amdhsa_user_sgpr_kernarg_segment_ptr 1
		.amdhsa_user_sgpr_dispatch_id 0
		.amdhsa_user_sgpr_flat_scratch_init 0
		.amdhsa_user_sgpr_kernarg_preload_length 0
		.amdhsa_user_sgpr_kernarg_preload_offset 0
		.amdhsa_user_sgpr_private_segment_size 0
		.amdhsa_uses_dynamic_stack 0
		.amdhsa_system_sgpr_private_segment_wavefront_offset 0
		.amdhsa_system_sgpr_workgroup_id_x 1
		.amdhsa_system_sgpr_workgroup_id_y 0
		.amdhsa_system_sgpr_workgroup_id_z 0
		.amdhsa_system_sgpr_workgroup_info 0
		.amdhsa_system_vgpr_workitem_id 0
		.amdhsa_next_free_vgpr 51
		.amdhsa_next_free_sgpr 40
		.amdhsa_accum_offset 52
		.amdhsa_reserve_vcc 1
		.amdhsa_reserve_flat_scratch 0
		.amdhsa_float_round_mode_32 0
		.amdhsa_float_round_mode_16_64 0
		.amdhsa_float_denorm_mode_32 3
		.amdhsa_float_denorm_mode_16_64 3
		.amdhsa_dx10_clamp 1
		.amdhsa_ieee_mode 1
		.amdhsa_fp16_overflow 0
		.amdhsa_tg_split 0
		.amdhsa_exception_fp_ieee_invalid_op 0
		.amdhsa_exception_fp_denorm_src 0
		.amdhsa_exception_fp_ieee_div_zero 0
		.amdhsa_exception_fp_ieee_overflow 0
		.amdhsa_exception_fp_ieee_underflow 0
		.amdhsa_exception_fp_ieee_inexact 0
		.amdhsa_exception_int_div_zero 0
	.end_amdhsa_kernel
	.section	.text._ZN4vllm18act_and_mul_kernelIN3c104HalfETnPFT_RKS3_EXadL_ZNS_11gelu_kernelIS2_EES3_S5_EELb1EEEvPS3_PS4_i,"axG",@progbits,_ZN4vllm18act_and_mul_kernelIN3c104HalfETnPFT_RKS3_EXadL_ZNS_11gelu_kernelIS2_EES3_S5_EELb1EEEvPS3_PS4_i,comdat
.Lfunc_end7:
	.size	_ZN4vllm18act_and_mul_kernelIN3c104HalfETnPFT_RKS3_EXadL_ZNS_11gelu_kernelIS2_EES3_S5_EELb1EEEvPS3_PS4_i, .Lfunc_end7-_ZN4vllm18act_and_mul_kernelIN3c104HalfETnPFT_RKS3_EXadL_ZNS_11gelu_kernelIS2_EES3_S5_EELb1EEEvPS3_PS4_i
                                        ; -- End function
	.section	.AMDGPU.csdata,"",@progbits
; Kernel info:
; codeLenInByte = 2600
; NumSgprs: 44
; NumVgprs: 51
; NumAgprs: 0
; TotalNumVgprs: 51
; ScratchSize: 0
; MemoryBound: 0
; FloatMode: 240
; IeeeMode: 1
; LDSByteSize: 0 bytes/workgroup (compile time only)
; SGPRBlocks: 5
; VGPRBlocks: 6
; NumSGPRsForWavesPerEU: 44
; NumVGPRsForWavesPerEU: 51
; AccumOffset: 52
; Occupancy: 8
; WaveLimiterHint : 0
; COMPUTE_PGM_RSRC2:SCRATCH_EN: 0
; COMPUTE_PGM_RSRC2:USER_SGPR: 6
; COMPUTE_PGM_RSRC2:TRAP_HANDLER: 0
; COMPUTE_PGM_RSRC2:TGID_X_EN: 1
; COMPUTE_PGM_RSRC2:TGID_Y_EN: 0
; COMPUTE_PGM_RSRC2:TGID_Z_EN: 0
; COMPUTE_PGM_RSRC2:TIDIG_COMP_CNT: 0
; COMPUTE_PGM_RSRC3_GFX90A:ACCUM_OFFSET: 12
; COMPUTE_PGM_RSRC3_GFX90A:TG_SPLIT: 0
	.section	.text._ZN4vllm18act_and_mul_kernelIN3c108BFloat16ETnPFT_RKS3_EXadL_ZNS_11gelu_kernelIS2_EES3_S5_EELb1EEEvPS3_PS4_i,"axG",@progbits,_ZN4vllm18act_and_mul_kernelIN3c108BFloat16ETnPFT_RKS3_EXadL_ZNS_11gelu_kernelIS2_EES3_S5_EELb1EEEvPS3_PS4_i,comdat
	.protected	_ZN4vllm18act_and_mul_kernelIN3c108BFloat16ETnPFT_RKS3_EXadL_ZNS_11gelu_kernelIS2_EES3_S5_EELb1EEEvPS3_PS4_i ; -- Begin function _ZN4vllm18act_and_mul_kernelIN3c108BFloat16ETnPFT_RKS3_EXadL_ZNS_11gelu_kernelIS2_EES3_S5_EELb1EEEvPS3_PS4_i
	.globl	_ZN4vllm18act_and_mul_kernelIN3c108BFloat16ETnPFT_RKS3_EXadL_ZNS_11gelu_kernelIS2_EES3_S5_EELb1EEEvPS3_PS4_i
	.p2align	8
	.type	_ZN4vllm18act_and_mul_kernelIN3c108BFloat16ETnPFT_RKS3_EXadL_ZNS_11gelu_kernelIS2_EES3_S5_EELb1EEEvPS3_PS4_i,@function
_ZN4vllm18act_and_mul_kernelIN3c108BFloat16ETnPFT_RKS3_EXadL_ZNS_11gelu_kernelIS2_EES3_S5_EELb1EEEvPS3_PS4_i: ; @_ZN4vllm18act_and_mul_kernelIN3c108BFloat16ETnPFT_RKS3_EXadL_ZNS_11gelu_kernelIS2_EES3_S5_EELb1EEEvPS3_PS4_i
; %bb.0:
	s_load_dword s12, s[4:5], 0x10
	s_waitcnt lgkmcnt(0)
	v_cmp_gt_i32_e32 vcc, s12, v0
	s_and_saveexec_b64 s[0:1], vcc
	s_cbranch_execz .LBB8_16
; %bb.1:
	s_load_dword s0, s[4:5], 0x24
	s_load_dwordx4 s[8:11], s[4:5], 0x0
	s_ashr_i32 s13, s12, 31
	v_mov_b32_e32 v2, s13
	v_mov_b32_e32 v1, 0
	s_waitcnt lgkmcnt(0)
	s_and_b32 s15, s0, 0xffff
	v_add_co_u32_e32 v4, vcc, s15, v0
	v_addc_co_u32_e64 v5, s[0:1], 0, 0, vcc
	v_cmp_lt_i64_e32 vcc, s[12:13], v[4:5]
	v_cndmask_b32_e32 v6, v2, v5, vcc
	v_mov_b32_e32 v2, s12
	v_cndmask_b32_e32 v3, v2, v4, vcc
	v_cmp_gt_i64_e32 vcc, s[12:13], v[4:5]
	v_cndmask_b32_e64 v2, 0, 1, vcc
	v_add_co_u32_e32 v4, vcc, v4, v2
	v_addc_co_u32_e32 v5, vcc, 0, v5, vcc
	v_sub_co_u32_e32 v3, vcc, v3, v4
	v_subb_co_u32_e32 v5, vcc, v6, v5, vcc
	v_mov_b32_e32 v4, v1
	s_mov_b32 s17, 0
	v_cmp_ne_u64_e32 vcc, 0, v[4:5]
                                        ; implicit-def: $vgpr6_vgpr7
	s_and_saveexec_b64 s[0:1], vcc
	s_xor_b64 s[2:3], exec, s[0:1]
	s_cbranch_execz .LBB8_3
; %bb.2:
	v_cvt_f32_u32_e32 v4, s15
	v_mov_b32_e32 v6, 0x4f800000
	s_sub_u32 s0, 0, s15
	s_subb_u32 s1, 0, 0
	v_mac_f32_e32 v4, 0, v6
	v_rcp_f32_e32 v4, v4
	v_mul_f32_e32 v4, 0x5f7ffffc, v4
	v_mul_f32_e32 v6, 0x2f800000, v4
	v_trunc_f32_e32 v6, v6
	v_madmk_f32 v4, v6, 0xcf800000, v4
	v_cvt_u32_f32_e32 v6, v6
	v_cvt_u32_f32_e32 v4, v4
	v_mul_lo_u32 v7, s0, v6
	v_mul_hi_u32 v9, s0, v4
	v_mul_lo_u32 v8, s1, v4
	v_add_u32_e32 v7, v9, v7
	v_mul_lo_u32 v10, s0, v4
	v_add_u32_e32 v7, v7, v8
	v_mul_hi_u32 v9, v4, v10
	v_mul_lo_u32 v11, v4, v7
	v_mul_hi_u32 v8, v4, v7
	v_add_co_u32_e32 v9, vcc, v9, v11
	v_addc_co_u32_e32 v8, vcc, 0, v8, vcc
	v_mul_hi_u32 v12, v6, v10
	v_mul_lo_u32 v10, v6, v10
	v_add_co_u32_e32 v9, vcc, v9, v10
	v_mul_hi_u32 v11, v6, v7
	v_addc_co_u32_e32 v8, vcc, v8, v12, vcc
	v_addc_co_u32_e32 v9, vcc, 0, v11, vcc
	v_mul_lo_u32 v7, v6, v7
	v_add_co_u32_e32 v7, vcc, v8, v7
	v_addc_co_u32_e32 v8, vcc, 0, v9, vcc
	v_add_co_u32_e32 v4, vcc, v4, v7
	v_addc_co_u32_e32 v6, vcc, v6, v8, vcc
	v_mul_lo_u32 v7, s0, v6
	v_mul_hi_u32 v8, s0, v4
	v_add_u32_e32 v7, v8, v7
	v_mul_lo_u32 v8, s1, v4
	v_add_u32_e32 v7, v7, v8
	v_mul_lo_u32 v9, s0, v4
	v_mul_hi_u32 v10, v6, v9
	v_mul_lo_u32 v11, v6, v9
	v_mul_lo_u32 v13, v4, v7
	v_mul_hi_u32 v9, v4, v9
	v_mul_hi_u32 v12, v4, v7
	v_add_co_u32_e32 v9, vcc, v9, v13
	v_addc_co_u32_e32 v12, vcc, 0, v12, vcc
	v_add_co_u32_e32 v9, vcc, v9, v11
	v_mul_hi_u32 v8, v6, v7
	v_addc_co_u32_e32 v9, vcc, v12, v10, vcc
	v_addc_co_u32_e32 v8, vcc, 0, v8, vcc
	v_mul_lo_u32 v7, v6, v7
	v_add_co_u32_e32 v7, vcc, v9, v7
	v_addc_co_u32_e32 v8, vcc, 0, v8, vcc
	v_add_co_u32_e32 v4, vcc, v4, v7
	v_addc_co_u32_e32 v8, vcc, v6, v8, vcc
	v_mad_u64_u32 v[6:7], s[0:1], v3, v8, 0
	v_mul_hi_u32 v9, v3, v4
	v_add_co_u32_e32 v10, vcc, v9, v6
	v_addc_co_u32_e32 v11, vcc, 0, v7, vcc
	v_mad_u64_u32 v[6:7], s[0:1], v5, v8, 0
	v_mad_u64_u32 v[8:9], s[0:1], v5, v4, 0
	v_add_co_u32_e32 v4, vcc, v10, v8
	v_addc_co_u32_e32 v4, vcc, v11, v9, vcc
	v_addc_co_u32_e32 v7, vcc, 0, v7, vcc
	v_add_co_u32_e32 v10, vcc, v4, v6
	v_addc_co_u32_e32 v11, vcc, 0, v7, vcc
	v_mad_u64_u32 v[6:7], s[0:1], s15, v10, 0
	v_mov_b32_e32 v4, v7
	v_mad_u64_u32 v[8:9], s[0:1], s15, v11, v[4:5]
	v_sub_co_u32_e32 v3, vcc, v3, v6
	v_subb_co_u32_e32 v4, vcc, v5, v8, vcc
	v_subrev_co_u32_e32 v5, vcc, s15, v3
	v_subbrev_co_u32_e32 v6, vcc, 0, v4, vcc
	v_cmp_le_u32_e32 vcc, s15, v5
	v_cndmask_b32_e64 v5, 0, -1, vcc
	v_cmp_eq_u32_e32 vcc, 0, v6
	v_cndmask_b32_e32 v5, -1, v5, vcc
	v_add_co_u32_e32 v6, vcc, 2, v10
	v_addc_co_u32_e32 v7, vcc, 0, v11, vcc
	v_add_co_u32_e32 v8, vcc, 1, v10
	v_cmp_le_u32_e64 s[0:1], s15, v3
	v_addc_co_u32_e32 v9, vcc, 0, v11, vcc
	v_cndmask_b32_e64 v3, 0, -1, s[0:1]
	v_cmp_eq_u32_e64 s[0:1], 0, v4
	v_cmp_ne_u32_e32 vcc, 0, v5
	v_cndmask_b32_e64 v3, -1, v3, s[0:1]
	v_cndmask_b32_e32 v5, v9, v7, vcc
	v_cmp_ne_u32_e64 s[0:1], 0, v3
	v_cndmask_b32_e32 v3, v8, v6, vcc
	v_cndmask_b32_e64 v7, v11, v5, s[0:1]
	v_cndmask_b32_e64 v6, v10, v3, s[0:1]
                                        ; implicit-def: $vgpr3
.LBB8_3:
	s_andn2_saveexec_b64 s[0:1], s[2:3]
	s_cbranch_execz .LBB8_5
; %bb.4:
	v_cvt_f32_u32_e32 v4, s15
	s_sub_i32 s2, 0, s15
	v_mov_b32_e32 v7, 0
	v_rcp_iflag_f32_e32 v4, v4
	v_mul_f32_e32 v4, 0x4f7ffffe, v4
	v_cvt_u32_f32_e32 v4, v4
	v_mul_lo_u32 v5, s2, v4
	v_mul_hi_u32 v5, v4, v5
	v_add_u32_e32 v4, v4, v5
	v_mul_hi_u32 v4, v3, v4
	v_mul_lo_u32 v5, v4, s15
	v_sub_u32_e32 v3, v3, v5
	v_add_u32_e32 v6, 1, v4
	v_subrev_u32_e32 v5, s15, v3
	v_cmp_le_u32_e32 vcc, s15, v3
	v_cndmask_b32_e32 v3, v3, v5, vcc
	v_cndmask_b32_e32 v4, v4, v6, vcc
	v_add_u32_e32 v5, 1, v4
	v_cmp_le_u32_e32 vcc, s15, v3
	v_cndmask_b32_e32 v6, v4, v5, vcc
.LBB8_5:
	s_or_b64 exec, exec, s[0:1]
	s_mul_i32 s0, s6, s13
	s_mul_hi_u32 s1, s6, s12
	s_add_i32 s1, s1, s0
	s_mul_i32 s0, s6, s12
	s_lshl_b64 s[2:3], s[0:1], 2
	s_add_u32 s19, s10, s2
	s_addc_u32 s25, s11, s3
	s_lshl_b64 s[2:3], s[12:13], 1
	v_add_co_u32_e32 v2, vcc, v6, v2
	s_add_u32 s11, s19, s2
	v_addc_co_u32_e32 v3, vcc, 0, v7, vcc
	s_addc_u32 s27, s25, s3
	s_lshl_b64 s[0:1], s[0:1], 1
	v_add_co_u32_e32 v2, vcc, 1, v2
	s_add_u32 s21, s8, s0
	v_addc_co_u32_e32 v3, vcc, 0, v3, vcc
	s_addc_u32 s23, s9, s1
	v_cmp_lt_u64_e32 vcc, 3, v[2:3]
	v_cmp_eq_u16_e64 s[0:1], s15, 1
	s_and_b64 s[2:3], vcc, s[0:1]
	s_mov_b64 s[0:1], -1
	s_and_saveexec_b64 s[6:7], s[2:3]
	s_cbranch_execz .LBB8_9
; %bb.6:
	s_mov_b32 s1, 0
	s_mov_b32 s0, 0xb9c68948
	v_and_b32_e32 v4, -4, v2
	v_mov_b32_e32 v5, v3
	v_pk_mov_b32 v[8:9], s[0:1], s[0:1] op_sel:[0,1]
	s_mov_b32 s0, 0x3ba10414
	v_lshlrev_b32_e32 v6, 1, v0
	v_mov_b32_e32 v7, 0
	s_lshl_b32 s29, s15, 3
	s_mov_b64 s[8:9], 0
	v_mov_b32_e32 v20, s25
	v_mov_b32_e32 v21, s27
	s_mov_b32 s10, 0x3f3504f3
	s_brev_b32 s31, -2
	s_mov_b32 s14, 0x378e98ab
	s_mov_b32 s16, 0x3b7cd369
	;; [unrolled: 1-line block ×9, first 2 shown]
	v_mov_b32_e32 v22, 0x7f800000
	s_mov_b32 s26, 0xba1345e1
	v_pk_mov_b32 v[10:11], s[0:1], s[0:1] op_sel:[0,1]
	s_mov_b32 s28, 0xbcdac9b8
	s_mov_b32 s30, 0x3de703be
	;; [unrolled: 1-line block ×4, first 2 shown]
	s_movk_i32 s38, 0x7fff
	v_mov_b32_e32 v23, 0x7fc00000
	v_mov_b32_e32 v24, 0x7fc0
	s_mov_b32 s39, 0x5040100
	v_mov_b32_e32 v25, s23
	v_mov_b32_e32 v26, s1
	v_pk_mov_b32 v[12:13], v[4:5], v[4:5] op_sel:[0,1]
.LBB8_7:                                ; =>This Inner Loop Header: Depth=1
	v_add_co_u32_e32 v14, vcc, s19, v6
	v_addc_co_u32_e32 v15, vcc, v20, v7, vcc
	v_add_co_u32_e32 v16, vcc, s11, v6
	v_addc_co_u32_e32 v17, vcc, v21, v7, vcc
	global_load_dwordx2 v[28:29], v[14:15], off
	global_load_dwordx2 v[30:31], v[16:17], off
	v_add_co_u32_e32 v18, vcc, s21, v6
	v_addc_co_u32_e32 v19, vcc, v25, v7, vcc
	v_add_co_u32_e32 v12, vcc, -4, v12
	v_addc_co_u32_e32 v13, vcc, -1, v13, vcc
	v_add_co_u32_e32 v6, vcc, s29, v6
	v_addc_co_u32_e32 v7, vcc, v7, v26, vcc
	v_cmp_eq_u64_e32 vcc, 0, v[12:13]
	s_or_b64 s[8:9], vcc, s[8:9]
	s_waitcnt vmcnt(1)
	v_and_b32_e32 v33, 0xffff0000, v29
	v_lshlrev_b32_e32 v32, 16, v29
	v_and_b32_e32 v29, 0xffff0000, v28
	v_lshlrev_b32_e32 v28, 16, v28
	s_waitcnt vmcnt(0)
	v_and_b32_e32 v15, 0xffff0000, v31
	v_lshlrev_b32_e32 v14, 16, v31
	v_and_b32_e32 v17, 0xffff0000, v30
	v_lshlrev_b32_e32 v16, 16, v30
	v_pk_mul_f32 v[30:31], v[28:29], s[10:11] op_sel_hi:[1,0]
	v_pk_mul_f32 v[34:35], v[32:33], s[10:11] op_sel_hi:[1,0]
	v_and_b32_e32 v37, 0x7fffffff, v35
	v_and_b32_e32 v36, 0x7fffffff, v34
	;; [unrolled: 1-line block ×4, first 2 shown]
	v_pk_mul_f32 v[40:41], v[30:31], v[30:31]
	v_pk_mul_f32 v[42:43], v[34:35], v[34:35]
	v_pk_fma_f32 v[44:45], v[36:37], s[14:15], v[8:9] op_sel_hi:[1,0,0]
	v_pk_fma_f32 v[46:47], v[38:39], s[14:15], v[8:9] op_sel_hi:[1,0,0]
	;; [unrolled: 1-line block ×22, first 2 shown]
	v_pk_fma_f32 v[40:41], v[38:39], v[40:41], v[38:39]
	v_pk_fma_f32 v[42:43], v[36:37], v[42:43], v[36:37]
	;; [unrolled: 1-line block ×4, first 2 shown]
	v_mul_f32_e32 v27, 0xbfb8aa3b, v36
	v_mul_f32_e32 v44, 0xbfb8aa3b, v37
	;; [unrolled: 1-line block ×4, first 2 shown]
	v_fma_f32 v47, v36, s33, -v27
	v_rndne_f32_e32 v48, v27
	v_fma_f32 v49, v37, s33, -v44
	v_rndne_f32_e32 v50, v44
	;; [unrolled: 2-line block ×4, first 2 shown]
	v_fmac_f32_e32 v47, 0xb2a5705f, v36
	v_sub_f32_e32 v27, v27, v48
	v_fmac_f32_e32 v49, 0xb2a5705f, v37
	v_sub_f32_e32 v44, v44, v50
	;; [unrolled: 2-line block ×4, first 2 shown]
	v_add_f32_e32 v27, v27, v47
	v_add_f32_e32 v44, v44, v49
	;; [unrolled: 1-line block ×4, first 2 shown]
	v_cvt_i32_f32_e32 v48, v48
	v_cvt_i32_f32_e32 v50, v50
	;; [unrolled: 1-line block ×4, first 2 shown]
	v_exp_f32_e32 v27, v27
	v_exp_f32_e32 v44, v44
	;; [unrolled: 1-line block ×4, first 2 shown]
	v_ldexp_f32 v27, v27, v48
	v_ldexp_f32 v44, v44, v50
	v_cmp_nlt_f32_e32 vcc, s35, v37
	v_ldexp_f32 v45, v45, v52
	v_cmp_nlt_f32_e64 s[0:1], s35, v38
	v_ldexp_f32 v46, v46, v54
	v_cmp_nlt_f32_e64 s[2:3], s35, v39
	v_cmp_nlt_f32_e64 s[4:5], s35, v36
	v_cndmask_b32_e64 v27, 0, v27, s[4:5]
	v_cndmask_b32_e32 v44, 0, v44, vcc
	v_cmp_ngt_f32_e32 vcc, s37, v37
	v_cndmask_b32_e64 v37, 0, v45, s[0:1]
	v_cmp_ngt_f32_e64 s[0:1], s37, v38
	v_cndmask_b32_e64 v38, 0, v46, s[2:3]
	v_cmp_ngt_f32_e64 s[2:3], s37, v39
	v_cmp_ngt_f32_e64 s[4:5], s37, v36
	v_cndmask_b32_e64 v27, v22, v27, s[4:5]
	v_cndmask_b32_e32 v36, v22, v44, vcc
	v_cndmask_b32_e64 v37, v22, v37, s[0:1]
	v_cndmask_b32_e64 v38, v22, v38, s[2:3]
	v_sub_f32_e32 v38, 1.0, v38
	v_cmp_nlt_f32_e64 vcc, |v31|, 1.0
	v_sub_f32_e32 v37, 1.0, v37
	v_cmp_nlt_f32_e64 s[0:1], |v30|, 1.0
	v_sub_f32_e32 v36, 1.0, v36
	v_cmp_nlt_f32_e64 s[2:3], |v35|, 1.0
	;; [unrolled: 2-line block ×3, first 2 shown]
	v_cndmask_b32_e64 v27, v42, v27, s[4:5]
	v_cndmask_b32_e64 v36, v43, v36, s[2:3]
	;; [unrolled: 1-line block ×3, first 2 shown]
	v_cndmask_b32_e32 v38, v41, v38, vcc
	v_bfi_b32 v31, s31, v38, v31
	v_bfi_b32 v30, s31, v37, v30
	;; [unrolled: 1-line block ×4, first 2 shown]
	v_pk_mul_f32 v[32:33], v[32:33], 0.5 op_sel_hi:[1,0]
	v_pk_mul_f32 v[28:29], v[28:29], 0.5 op_sel_hi:[1,0]
	v_pk_add_f32 v[34:35], v[34:35], 1.0 op_sel_hi:[1,0]
	v_pk_add_f32 v[30:31], v[30:31], 1.0 op_sel_hi:[1,0]
	v_pk_mul_f32 v[28:29], v[28:29], v[30:31]
	v_pk_mul_f32 v[30:31], v[32:33], v[34:35]
	v_bfe_u32 v27, v28, 16, 1
	v_bfe_u32 v32, v29, 16, 1
	;; [unrolled: 1-line block ×4, first 2 shown]
	v_add3_u32 v34, v31, v34, s38
	v_add3_u32 v33, v30, v33, s38
	;; [unrolled: 1-line block ×4, first 2 shown]
	v_and_b32_e32 v27, 0xffff0000, v27
	v_and_b32_e32 v32, 0xffff0000, v32
	v_and_b32_e32 v33, 0xffff0000, v33
	v_and_b32_e32 v34, 0xffff0000, v34
	v_cmp_o_f32_e32 vcc, v30, v30
	v_cmp_o_f32_e64 s[0:1], v29, v29
	v_cmp_o_f32_e64 s[2:3], v28, v28
	;; [unrolled: 1-line block ×3, first 2 shown]
	v_cndmask_b32_e64 v29, v23, v34, s[4:5]
	v_cndmask_b32_e32 v28, v23, v33, vcc
	v_cndmask_b32_e64 v31, v23, v32, s[0:1]
	v_cndmask_b32_e64 v30, v23, v27, s[2:3]
	v_pk_mul_f32 v[16:17], v[30:31], v[16:17]
	v_pk_mul_f32 v[14:15], v[28:29], v[14:15]
	v_bfe_u32 v27, v16, 16, 1
	v_bfe_u32 v28, v17, 16, 1
	v_bfe_u32 v29, v14, 16, 1
	v_bfe_u32 v30, v15, 16, 1
	v_add3_u32 v30, v15, v30, s38
	v_add3_u32 v29, v14, v29, s38
	v_add3_u32 v28, v17, v28, s38
	v_add3_u32 v27, v16, v27, s38
	v_lshrrev_b32_e32 v27, 16, v27
	v_lshrrev_b32_e32 v28, 16, v28
	;; [unrolled: 1-line block ×4, first 2 shown]
	v_cmp_o_f32_e32 vcc, v17, v17
	v_cmp_o_f32_e64 s[0:1], v14, v14
	v_cmp_o_f32_e64 s[2:3], v15, v15
	;; [unrolled: 1-line block ×3, first 2 shown]
	v_cndmask_b32_e64 v14, v24, v27, s[4:5]
	v_cndmask_b32_e32 v15, v24, v28, vcc
	v_cndmask_b32_e64 v16, v24, v29, s[0:1]
	v_cndmask_b32_e64 v17, v24, v30, s[2:3]
	v_perm_b32 v14, v15, v14, s39
	v_perm_b32 v15, v17, v16, s39
	global_store_dwordx2 v[18:19], v[14:15], off
	s_andn2_b64 exec, exec, s[8:9]
	s_cbranch_execnz .LBB8_7
; %bb.8:
	s_or_b64 exec, exec, s[8:9]
	v_mad_u64_u32 v[0:1], s[0:1], v4, s15, v[0:1]
	v_mov_b32_e32 v6, v1
	v_mad_u64_u32 v[6:7], s[0:1], v5, s15, v[6:7]
	v_cmp_ne_u64_e32 vcc, v[2:3], v[4:5]
	v_mov_b32_e32 v1, v6
	s_orn2_b64 s[0:1], vcc, exec
.LBB8_9:
	s_or_b64 exec, exec, s[6:7]
	s_and_b64 exec, exec, s[0:1]
	s_cbranch_execz .LBB8_16
; %bb.10:
	s_mov_b32 s2, 0
	v_lshlrev_b64 v[2:3], 1, v[0:1]
	s_lshl_b32 s4, s15, 1
	s_mov_b64 s[0:1], 0
	v_mov_b32_e32 v4, s25
	v_mov_b32_e32 v5, s27
	s_mov_b32 s5, 0x378e98ab
	s_mov_b32 s6, 0x3b7cd369
	;; [unrolled: 1-line block ×9, first 2 shown]
	v_mov_b32_e32 v6, 0xbcdac9b8
	v_mov_b32_e32 v7, 0x3de703be
	v_mov_b32_e32 v8, 0xbec09330
	v_mov_b32_e32 v9, 0x3e0375d0
	s_brev_b32 s20, -2
	s_movk_i32 s22, 0x7fff
	v_mov_b32_e32 v10, 0x7fc00000
	v_mov_b32_e32 v11, 0x7fc0
	;; [unrolled: 1-line block ×7, first 2 shown]
	s_branch .LBB8_12
.LBB8_11:                               ;   in Loop: Header=BB8_12 Depth=1
	s_or_b64 exec, exec, s[2:3]
	v_bfi_b32 v19, s20, v20, v19
	v_mul_f32_e32 v18, 0.5, v18
	v_add_f32_e32 v19, 1.0, v19
	v_mul_f32_e32 v18, v18, v19
	v_bfe_u32 v19, v18, 16, 1
	v_add3_u32 v19, v18, v19, s22
	v_and_b32_e32 v19, 0xffff0000, v19
	v_cmp_o_f32_e32 vcc, v18, v18
	v_cndmask_b32_e32 v18, v10, v19, vcc
	s_waitcnt vmcnt(0)
	v_lshlrev_b32_e32 v17, 16, v17
	v_mul_f32_e32 v17, v18, v17
	v_bfe_u32 v18, v17, 16, 1
	v_add3_u32 v18, v17, v18, s22
	v_lshrrev_b32_e32 v18, 16, v18
	v_cmp_o_f32_e32 vcc, v17, v17
	v_cndmask_b32_e32 v17, v11, v18, vcc
	v_add_co_u32_e32 v18, vcc, s21, v2
	v_addc_co_u32_e32 v19, vcc, v12, v3, vcc
	v_add_co_u32_e32 v0, vcc, s15, v0
	v_addc_co_u32_e32 v1, vcc, v1, v13, vcc
	v_cmp_le_i64_e32 vcc, s[12:13], v[0:1]
	s_or_b64 s[0:1], vcc, s[0:1]
	v_add_co_u32_e32 v2, vcc, s4, v2
	v_addc_co_u32_e32 v3, vcc, v3, v14, vcc
	global_store_short v[18:19], v17, off
	s_andn2_b64 exec, exec, s[0:1]
	s_cbranch_execz .LBB8_16
.LBB8_12:                               ; =>This Inner Loop Header: Depth=1
	v_add_co_u32_e32 v18, vcc, s19, v2
	v_addc_co_u32_e32 v19, vcc, v4, v3, vcc
	global_load_ushort v20, v[18:19], off
	v_add_co_u32_e32 v18, vcc, s11, v2
	v_addc_co_u32_e32 v19, vcc, v5, v3, vcc
	global_load_ushort v17, v[18:19], off
	s_waitcnt vmcnt(1)
	v_lshlrev_b32_e32 v18, 16, v20
	v_mul_f32_e32 v19, 0x3f3504f3, v18
	v_cmp_nlt_f32_e64 s[2:3], |v19|, 1.0
                                        ; implicit-def: $vgpr20
	s_and_saveexec_b64 s[24:25], s[2:3]
	s_xor_b64 s[2:3], exec, s[24:25]
	s_cbranch_execz .LBB8_14
; %bb.13:                               ;   in Loop: Header=BB8_12 Depth=1
	v_fma_f32 v20, |v19|, s5, v15
	v_fma_f32 v20, |v19|, v20, s6
	v_fma_f32 v20, |v19|, v20, s7
	v_fma_f32 v20, |v19|, v20, s8
	v_fma_f32 v20, |v19|, v20, s9
	v_fma_f32 v20, |v19|, v20, s10
	v_fma_f32 v20, |v19|, v20, |v19|
	v_mul_f32_e32 v21, 0xbfb8aa3b, v20
	v_fma_f32 v22, v20, s14, -v21
	v_rndne_f32_e32 v23, v21
	v_fmac_f32_e32 v22, 0xb2a5705f, v20
	v_sub_f32_e32 v21, v21, v23
	v_add_f32_e32 v21, v21, v22
	v_cvt_i32_f32_e32 v22, v23
	v_exp_f32_e32 v21, v21
	v_cmp_nlt_f32_e32 vcc, s16, v20
	v_ldexp_f32 v21, v21, v22
	v_cndmask_b32_e32 v21, 0, v21, vcc
	v_cmp_ngt_f32_e32 vcc, s18, v20
	v_cndmask_b32_e32 v20, v16, v21, vcc
	v_sub_f32_e32 v20, 1.0, v20
.LBB8_14:                               ;   in Loop: Header=BB8_12 Depth=1
	s_andn2_saveexec_b64 s[2:3], s[2:3]
	s_cbranch_execz .LBB8_11
; %bb.15:                               ;   in Loop: Header=BB8_12 Depth=1
	v_mul_f32_e32 v20, v19, v19
	v_mov_b32_e32 v21, 0x3ba10414
	v_fmac_f32_e32 v21, 0xba1345e1, v20
	v_fma_f32 v21, v20, v21, v6
	v_fma_f32 v21, v20, v21, v7
	;; [unrolled: 1-line block ×4, first 2 shown]
	v_fma_f32 v20, |v19|, v20, |v19|
	s_branch .LBB8_11
.LBB8_16:
	s_endpgm
	.section	.rodata,"a",@progbits
	.p2align	6, 0x0
	.amdhsa_kernel _ZN4vllm18act_and_mul_kernelIN3c108BFloat16ETnPFT_RKS3_EXadL_ZNS_11gelu_kernelIS2_EES3_S5_EELb1EEEvPS3_PS4_i
		.amdhsa_group_segment_fixed_size 0
		.amdhsa_private_segment_fixed_size 0
		.amdhsa_kernarg_size 280
		.amdhsa_user_sgpr_count 6
		.amdhsa_user_sgpr_private_segment_buffer 1
		.amdhsa_user_sgpr_dispatch_ptr 0
		.amdhsa_user_sgpr_queue_ptr 0
		.amdhsa_user_sgpr_kernarg_segment_ptr 1
		.amdhsa_user_sgpr_dispatch_id 0
		.amdhsa_user_sgpr_flat_scratch_init 0
		.amdhsa_user_sgpr_kernarg_preload_length 0
		.amdhsa_user_sgpr_kernarg_preload_offset 0
		.amdhsa_user_sgpr_private_segment_size 0
		.amdhsa_uses_dynamic_stack 0
		.amdhsa_system_sgpr_private_segment_wavefront_offset 0
		.amdhsa_system_sgpr_workgroup_id_x 1
		.amdhsa_system_sgpr_workgroup_id_y 0
		.amdhsa_system_sgpr_workgroup_id_z 0
		.amdhsa_system_sgpr_workgroup_info 0
		.amdhsa_system_vgpr_workitem_id 0
		.amdhsa_next_free_vgpr 55
		.amdhsa_next_free_sgpr 40
		.amdhsa_accum_offset 56
		.amdhsa_reserve_vcc 1
		.amdhsa_reserve_flat_scratch 0
		.amdhsa_float_round_mode_32 0
		.amdhsa_float_round_mode_16_64 0
		.amdhsa_float_denorm_mode_32 3
		.amdhsa_float_denorm_mode_16_64 3
		.amdhsa_dx10_clamp 1
		.amdhsa_ieee_mode 1
		.amdhsa_fp16_overflow 0
		.amdhsa_tg_split 0
		.amdhsa_exception_fp_ieee_invalid_op 0
		.amdhsa_exception_fp_denorm_src 0
		.amdhsa_exception_fp_ieee_div_zero 0
		.amdhsa_exception_fp_ieee_overflow 0
		.amdhsa_exception_fp_ieee_underflow 0
		.amdhsa_exception_fp_ieee_inexact 0
		.amdhsa_exception_int_div_zero 0
	.end_amdhsa_kernel
	.section	.text._ZN4vllm18act_and_mul_kernelIN3c108BFloat16ETnPFT_RKS3_EXadL_ZNS_11gelu_kernelIS2_EES3_S5_EELb1EEEvPS3_PS4_i,"axG",@progbits,_ZN4vllm18act_and_mul_kernelIN3c108BFloat16ETnPFT_RKS3_EXadL_ZNS_11gelu_kernelIS2_EES3_S5_EELb1EEEvPS3_PS4_i,comdat
.Lfunc_end8:
	.size	_ZN4vllm18act_and_mul_kernelIN3c108BFloat16ETnPFT_RKS3_EXadL_ZNS_11gelu_kernelIS2_EES3_S5_EELb1EEEvPS3_PS4_i, .Lfunc_end8-_ZN4vllm18act_and_mul_kernelIN3c108BFloat16ETnPFT_RKS3_EXadL_ZNS_11gelu_kernelIS2_EES3_S5_EELb1EEEvPS3_PS4_i
                                        ; -- End function
	.section	.AMDGPU.csdata,"",@progbits
; Kernel info:
; codeLenInByte = 2984
; NumSgprs: 44
; NumVgprs: 55
; NumAgprs: 0
; TotalNumVgprs: 55
; ScratchSize: 0
; MemoryBound: 0
; FloatMode: 240
; IeeeMode: 1
; LDSByteSize: 0 bytes/workgroup (compile time only)
; SGPRBlocks: 5
; VGPRBlocks: 6
; NumSGPRsForWavesPerEU: 44
; NumVGPRsForWavesPerEU: 55
; AccumOffset: 56
; Occupancy: 8
; WaveLimiterHint : 0
; COMPUTE_PGM_RSRC2:SCRATCH_EN: 0
; COMPUTE_PGM_RSRC2:USER_SGPR: 6
; COMPUTE_PGM_RSRC2:TRAP_HANDLER: 0
; COMPUTE_PGM_RSRC2:TGID_X_EN: 1
; COMPUTE_PGM_RSRC2:TGID_Y_EN: 0
; COMPUTE_PGM_RSRC2:TGID_Z_EN: 0
; COMPUTE_PGM_RSRC2:TIDIG_COMP_CNT: 0
; COMPUTE_PGM_RSRC3_GFX90A:ACCUM_OFFSET: 13
; COMPUTE_PGM_RSRC3_GFX90A:TG_SPLIT: 0
	.section	.text._ZN4vllm18act_and_mul_kernelIfTnPFT_RKS1_EXadL_ZNS_16gelu_tanh_kernelIfEES1_S3_EELb1EEEvPS1_PS2_i,"axG",@progbits,_ZN4vllm18act_and_mul_kernelIfTnPFT_RKS1_EXadL_ZNS_16gelu_tanh_kernelIfEES1_S3_EELb1EEEvPS1_PS2_i,comdat
	.protected	_ZN4vllm18act_and_mul_kernelIfTnPFT_RKS1_EXadL_ZNS_16gelu_tanh_kernelIfEES1_S3_EELb1EEEvPS1_PS2_i ; -- Begin function _ZN4vllm18act_and_mul_kernelIfTnPFT_RKS1_EXadL_ZNS_16gelu_tanh_kernelIfEES1_S3_EELb1EEEvPS1_PS2_i
	.globl	_ZN4vllm18act_and_mul_kernelIfTnPFT_RKS1_EXadL_ZNS_16gelu_tanh_kernelIfEES1_S3_EELb1EEEvPS1_PS2_i
	.p2align	8
	.type	_ZN4vllm18act_and_mul_kernelIfTnPFT_RKS1_EXadL_ZNS_16gelu_tanh_kernelIfEES1_S3_EELb1EEEvPS1_PS2_i,@function
_ZN4vllm18act_and_mul_kernelIfTnPFT_RKS1_EXadL_ZNS_16gelu_tanh_kernelIfEES1_S3_EELb1EEEvPS1_PS2_i: ; @_ZN4vllm18act_and_mul_kernelIfTnPFT_RKS1_EXadL_ZNS_16gelu_tanh_kernelIfEES1_S3_EELb1EEEvPS1_PS2_i
; %bb.0:
	s_load_dword s0, s[4:5], 0x10
	s_waitcnt lgkmcnt(0)
	v_cmp_gt_i32_e32 vcc, s0, v0
	s_and_saveexec_b64 s[2:3], vcc
	s_cbranch_execz .LBB9_7
; %bb.1:
	s_load_dwordx4 s[8:11], s[4:5], 0x0
	s_load_dword s12, s[4:5], 0x24
	s_ashr_i32 s1, s0, 31
	s_mul_hi_u32 s2, s6, s0
	s_mul_i32 s3, s6, s1
	s_add_i32 s3, s2, s3
	s_mul_i32 s2, s6, s0
	s_lshl_b64 s[6:7], s[2:3], 3
	s_waitcnt lgkmcnt(0)
	s_add_u32 s6, s10, s6
	s_addc_u32 s11, s11, s7
	s_lshl_b64 s[4:5], s[0:1], 2
	s_add_u32 s7, s6, s4
	s_addc_u32 s4, s11, s5
	s_lshl_b64 s[2:3], s[2:3], 2
	s_add_u32 s8, s8, s2
	s_mov_b32 s16, 0
	v_mov_b32_e32 v1, 0
	s_addc_u32 s5, s9, s3
	s_and_b32 s9, s12, 0xffff
	v_lshlrev_b32_e32 v2, 2, v0
	v_mov_b32_e32 v3, v1
	s_lshl_b32 s10, s9, 2
	s_mov_b64 s[2:3], 0
	v_mov_b32_e32 v4, s11
	v_mov_b32_e32 v5, s4
	s_mov_b32 s11, 0x3f200000
	s_mov_b32 s12, 0x3fb8aa3b
	;; [unrolled: 1-line block ×4, first 2 shown]
	v_mov_b32_e32 v6, 0xbd5c1c4e
	v_mov_b32_e32 v7, 0x3e088382
	;; [unrolled: 1-line block ×3, first 2 shown]
	s_brev_b32 s15, -2
	v_mov_b32_e32 v9, s5
	v_mov_b32_e32 v10, s16
	;; [unrolled: 1-line block ×4, first 2 shown]
	s_branch .LBB9_3
.LBB9_2:                                ;   in Loop: Header=BB9_3 Depth=1
	s_or_b64 exec, exec, s[4:5]
	v_bfi_b32 v15, s15, v16, v15
	v_mul_f32_e32 v13, 0.5, v13
	v_add_f32_e32 v15, 1.0, v15
	v_mul_f32_e32 v13, v13, v15
	s_waitcnt vmcnt(0)
	v_mul_f32_e32 v13, v14, v13
	v_add_co_u32_e32 v14, vcc, s8, v2
	v_addc_co_u32_e32 v15, vcc, v9, v3, vcc
	v_add_co_u32_e32 v0, vcc, s9, v0
	v_addc_co_u32_e32 v1, vcc, v1, v10, vcc
	v_cmp_le_i64_e32 vcc, s[0:1], v[0:1]
	s_or_b64 s[2:3], vcc, s[2:3]
	v_add_co_u32_e32 v2, vcc, s10, v2
	v_addc_co_u32_e32 v3, vcc, v3, v11, vcc
	global_store_dword v[14:15], v13, off
	s_andn2_b64 exec, exec, s[2:3]
	s_cbranch_execz .LBB9_7
.LBB9_3:                                ; =>This Inner Loop Header: Depth=1
	v_add_co_u32_e32 v14, vcc, s6, v2
	v_addc_co_u32_e32 v15, vcc, v4, v3, vcc
	global_load_dword v13, v[14:15], off
	v_add_co_u32_e32 v14, vcc, s7, v2
	v_addc_co_u32_e32 v15, vcc, v5, v3, vcc
	global_load_dword v14, v[14:15], off
	s_waitcnt vmcnt(1)
	v_mul_f32_e32 v15, v13, v13
	v_mul_f32_e32 v15, v13, v15
	v_mov_b32_e32 v16, v13
	v_fmac_f32_e32 v16, 0x3d372713, v15
	v_mul_f32_e32 v15, 0x3f4c422a, v16
	v_cmp_nlt_f32_e64 s[4:5], |v15|, s11
                                        ; implicit-def: $vgpr16
	s_and_saveexec_b64 s[16:17], s[4:5]
	s_xor_b64 s[4:5], exec, s[16:17]
	s_cbranch_execz .LBB9_5
; %bb.4:                                ;   in Loop: Header=BB9_3 Depth=1
	v_add_f32_e64 v16, |v15|, |v15|
	v_mul_f32_e32 v17, 0x3fb8aa3b, v16
	v_rndne_f32_e32 v18, v17
	v_sub_f32_e32 v19, v17, v18
	v_fma_f32 v17, v16, s12, -v17
	v_fmac_f32_e32 v17, 0x32a5705f, v16
	v_add_f32_e32 v17, v19, v17
	v_cvt_i32_f32_e32 v18, v18
	v_exp_f32_e32 v17, v17
	v_cmp_ngt_f32_e32 vcc, s13, v16
	v_ldexp_f32 v17, v17, v18
	v_cndmask_b32_e32 v17, 0, v17, vcc
	v_cmp_nlt_f32_e32 vcc, s14, v16
	v_cndmask_b32_e32 v16, v12, v17, vcc
	v_add_f32_e32 v16, 1.0, v16
	v_rcp_f32_e32 v16, v16
	v_fma_f32 v16, v16, -2.0, 1.0
.LBB9_5:                                ;   in Loop: Header=BB9_3 Depth=1
	s_andn2_saveexec_b64 s[4:5], s[4:5]
	s_cbranch_execz .LBB9_2
; %bb.6:                                ;   in Loop: Header=BB9_3 Depth=1
	v_mul_f32_e32 v16, v15, v15
	v_mov_b32_e32 v17, 0x3ca908c9
	v_fmac_f32_e32 v17, 0xbbbac73d, v16
	v_fma_f32 v17, v16, v17, v6
	v_fma_f32 v17, v16, v17, v7
	v_fma_f32 v17, v16, v17, v8
	v_mul_f32_e64 v17, |v15|, v17
	v_fma_f32 v16, v16, v17, |v15|
	s_branch .LBB9_2
.LBB9_7:
	s_endpgm
	.section	.rodata,"a",@progbits
	.p2align	6, 0x0
	.amdhsa_kernel _ZN4vllm18act_and_mul_kernelIfTnPFT_RKS1_EXadL_ZNS_16gelu_tanh_kernelIfEES1_S3_EELb1EEEvPS1_PS2_i
		.amdhsa_group_segment_fixed_size 0
		.amdhsa_private_segment_fixed_size 0
		.amdhsa_kernarg_size 280
		.amdhsa_user_sgpr_count 6
		.amdhsa_user_sgpr_private_segment_buffer 1
		.amdhsa_user_sgpr_dispatch_ptr 0
		.amdhsa_user_sgpr_queue_ptr 0
		.amdhsa_user_sgpr_kernarg_segment_ptr 1
		.amdhsa_user_sgpr_dispatch_id 0
		.amdhsa_user_sgpr_flat_scratch_init 0
		.amdhsa_user_sgpr_kernarg_preload_length 0
		.amdhsa_user_sgpr_kernarg_preload_offset 0
		.amdhsa_user_sgpr_private_segment_size 0
		.amdhsa_uses_dynamic_stack 0
		.amdhsa_system_sgpr_private_segment_wavefront_offset 0
		.amdhsa_system_sgpr_workgroup_id_x 1
		.amdhsa_system_sgpr_workgroup_id_y 0
		.amdhsa_system_sgpr_workgroup_id_z 0
		.amdhsa_system_sgpr_workgroup_info 0
		.amdhsa_system_vgpr_workitem_id 0
		.amdhsa_next_free_vgpr 20
		.amdhsa_next_free_sgpr 18
		.amdhsa_accum_offset 20
		.amdhsa_reserve_vcc 1
		.amdhsa_reserve_flat_scratch 0
		.amdhsa_float_round_mode_32 0
		.amdhsa_float_round_mode_16_64 0
		.amdhsa_float_denorm_mode_32 3
		.amdhsa_float_denorm_mode_16_64 3
		.amdhsa_dx10_clamp 1
		.amdhsa_ieee_mode 1
		.amdhsa_fp16_overflow 0
		.amdhsa_tg_split 0
		.amdhsa_exception_fp_ieee_invalid_op 0
		.amdhsa_exception_fp_denorm_src 0
		.amdhsa_exception_fp_ieee_div_zero 0
		.amdhsa_exception_fp_ieee_overflow 0
		.amdhsa_exception_fp_ieee_underflow 0
		.amdhsa_exception_fp_ieee_inexact 0
		.amdhsa_exception_int_div_zero 0
	.end_amdhsa_kernel
	.section	.text._ZN4vllm18act_and_mul_kernelIfTnPFT_RKS1_EXadL_ZNS_16gelu_tanh_kernelIfEES1_S3_EELb1EEEvPS1_PS2_i,"axG",@progbits,_ZN4vllm18act_and_mul_kernelIfTnPFT_RKS1_EXadL_ZNS_16gelu_tanh_kernelIfEES1_S3_EELb1EEEvPS1_PS2_i,comdat
.Lfunc_end9:
	.size	_ZN4vllm18act_and_mul_kernelIfTnPFT_RKS1_EXadL_ZNS_16gelu_tanh_kernelIfEES1_S3_EELb1EEEvPS1_PS2_i, .Lfunc_end9-_ZN4vllm18act_and_mul_kernelIfTnPFT_RKS1_EXadL_ZNS_16gelu_tanh_kernelIfEES1_S3_EELb1EEEvPS1_PS2_i
                                        ; -- End function
	.section	.AMDGPU.csdata,"",@progbits
; Kernel info:
; codeLenInByte = 556
; NumSgprs: 22
; NumVgprs: 20
; NumAgprs: 0
; TotalNumVgprs: 20
; ScratchSize: 0
; MemoryBound: 0
; FloatMode: 240
; IeeeMode: 1
; LDSByteSize: 0 bytes/workgroup (compile time only)
; SGPRBlocks: 2
; VGPRBlocks: 2
; NumSGPRsForWavesPerEU: 22
; NumVGPRsForWavesPerEU: 20
; AccumOffset: 20
; Occupancy: 8
; WaveLimiterHint : 0
; COMPUTE_PGM_RSRC2:SCRATCH_EN: 0
; COMPUTE_PGM_RSRC2:USER_SGPR: 6
; COMPUTE_PGM_RSRC2:TRAP_HANDLER: 0
; COMPUTE_PGM_RSRC2:TGID_X_EN: 1
; COMPUTE_PGM_RSRC2:TGID_Y_EN: 0
; COMPUTE_PGM_RSRC2:TGID_Z_EN: 0
; COMPUTE_PGM_RSRC2:TIDIG_COMP_CNT: 0
; COMPUTE_PGM_RSRC3_GFX90A:ACCUM_OFFSET: 4
; COMPUTE_PGM_RSRC3_GFX90A:TG_SPLIT: 0
	.section	.text._ZN4vllm18act_and_mul_kernelIN3c104HalfETnPFT_RKS3_EXadL_ZNS_16gelu_tanh_kernelIS2_EES3_S5_EELb1EEEvPS3_PS4_i,"axG",@progbits,_ZN4vllm18act_and_mul_kernelIN3c104HalfETnPFT_RKS3_EXadL_ZNS_16gelu_tanh_kernelIS2_EES3_S5_EELb1EEEvPS3_PS4_i,comdat
	.protected	_ZN4vllm18act_and_mul_kernelIN3c104HalfETnPFT_RKS3_EXadL_ZNS_16gelu_tanh_kernelIS2_EES3_S5_EELb1EEEvPS3_PS4_i ; -- Begin function _ZN4vllm18act_and_mul_kernelIN3c104HalfETnPFT_RKS3_EXadL_ZNS_16gelu_tanh_kernelIS2_EES3_S5_EELb1EEEvPS3_PS4_i
	.globl	_ZN4vllm18act_and_mul_kernelIN3c104HalfETnPFT_RKS3_EXadL_ZNS_16gelu_tanh_kernelIS2_EES3_S5_EELb1EEEvPS3_PS4_i
	.p2align	8
	.type	_ZN4vllm18act_and_mul_kernelIN3c104HalfETnPFT_RKS3_EXadL_ZNS_16gelu_tanh_kernelIS2_EES3_S5_EELb1EEEvPS3_PS4_i,@function
_ZN4vllm18act_and_mul_kernelIN3c104HalfETnPFT_RKS3_EXadL_ZNS_16gelu_tanh_kernelIS2_EES3_S5_EELb1EEEvPS3_PS4_i: ; @_ZN4vllm18act_and_mul_kernelIN3c104HalfETnPFT_RKS3_EXadL_ZNS_16gelu_tanh_kernelIS2_EES3_S5_EELb1EEEvPS3_PS4_i
; %bb.0:
	s_load_dword s0, s[4:5], 0x10
	s_waitcnt lgkmcnt(0)
	v_cmp_gt_i32_e32 vcc, s0, v0
	s_and_saveexec_b64 s[2:3], vcc
	s_cbranch_execz .LBB10_7
; %bb.1:
	s_load_dwordx4 s[8:11], s[4:5], 0x0
	s_load_dword s12, s[4:5], 0x24
	s_ashr_i32 s1, s0, 31
	s_mul_hi_u32 s2, s6, s0
	s_mul_i32 s3, s6, s1
	s_add_i32 s3, s2, s3
	s_mul_i32 s2, s6, s0
	s_lshl_b64 s[6:7], s[2:3], 2
	s_waitcnt lgkmcnt(0)
	s_add_u32 s6, s10, s6
	s_addc_u32 s11, s11, s7
	s_lshl_b64 s[4:5], s[0:1], 1
	s_add_u32 s7, s6, s4
	s_addc_u32 s4, s11, s5
	s_lshl_b64 s[2:3], s[2:3], 1
	s_add_u32 s8, s8, s2
	s_mov_b32 s17, 0
	v_mov_b32_e32 v1, 0
	s_addc_u32 s5, s9, s3
	s_and_b32 s9, s12, 0xffff
	v_lshlrev_b32_e32 v2, 1, v0
	v_mov_b32_e32 v3, v1
	s_lshl_b32 s10, s9, 1
	s_mov_b64 s[2:3], 0
	v_mov_b32_e32 v4, s11
	v_mov_b32_e32 v5, s4
	s_mov_b32 s11, 0x3d372713
	s_mov_b32 s12, 0x3f200000
	;; [unrolled: 1-line block ×5, first 2 shown]
	v_mov_b32_e32 v6, 0xbd5c1c4e
	v_mov_b32_e32 v7, 0x3e088382
	;; [unrolled: 1-line block ×3, first 2 shown]
	s_brev_b32 s16, -2
	v_mov_b32_e32 v9, s5
	v_mov_b32_e32 v10, s17
	;; [unrolled: 1-line block ×4, first 2 shown]
	s_branch .LBB10_3
.LBB10_2:                               ;   in Loop: Header=BB10_3 Depth=1
	s_or_b64 exec, exec, s[4:5]
	v_bfi_b32 v15, s16, v16, v15
	v_mul_f32_e32 v14, 0.5, v14
	v_add_f32_e32 v15, 1.0, v15
	v_fma_mixlo_f16 v14, v14, v15, 0
	s_waitcnt vmcnt(0)
	v_mul_f16_e32 v13, v13, v14
	v_add_co_u32_e32 v14, vcc, s8, v2
	v_addc_co_u32_e32 v15, vcc, v9, v3, vcc
	v_add_co_u32_e32 v0, vcc, s9, v0
	v_addc_co_u32_e32 v1, vcc, v1, v10, vcc
	v_cmp_le_i64_e32 vcc, s[0:1], v[0:1]
	s_or_b64 s[2:3], vcc, s[2:3]
	v_add_co_u32_e32 v2, vcc, s10, v2
	v_addc_co_u32_e32 v3, vcc, v3, v11, vcc
	global_store_short v[14:15], v13, off
	s_andn2_b64 exec, exec, s[2:3]
	s_cbranch_execz .LBB10_7
.LBB10_3:                               ; =>This Inner Loop Header: Depth=1
	v_add_co_u32_e32 v14, vcc, s6, v2
	v_addc_co_u32_e32 v15, vcc, v4, v3, vcc
	global_load_ushort v16, v[14:15], off
	v_add_co_u32_e32 v14, vcc, s7, v2
	v_addc_co_u32_e32 v15, vcc, v5, v3, vcc
	global_load_ushort v13, v[14:15], off
	s_waitcnt vmcnt(1)
	v_cvt_f32_f16_e32 v14, v16
	v_mul_f32_e32 v15, v14, v14
	v_mul_f32_e32 v15, v15, v14
	v_fma_mix_f32 v15, v15, s11, v16 op_sel_hi:[0,0,1]
	v_mul_f32_e32 v15, 0x3f4c422a, v15
	v_cmp_nlt_f32_e64 s[4:5], |v15|, s12
                                        ; implicit-def: $vgpr16
	s_and_saveexec_b64 s[18:19], s[4:5]
	s_xor_b64 s[4:5], exec, s[18:19]
	s_cbranch_execz .LBB10_5
; %bb.4:                                ;   in Loop: Header=BB10_3 Depth=1
	v_add_f32_e64 v16, |v15|, |v15|
	v_mul_f32_e32 v17, 0x3fb8aa3b, v16
	v_rndne_f32_e32 v18, v17
	v_sub_f32_e32 v19, v17, v18
	v_fma_f32 v17, v16, s13, -v17
	v_fmac_f32_e32 v17, 0x32a5705f, v16
	v_add_f32_e32 v17, v19, v17
	v_cvt_i32_f32_e32 v18, v18
	v_exp_f32_e32 v17, v17
	v_cmp_ngt_f32_e32 vcc, s14, v16
	v_ldexp_f32 v17, v17, v18
	v_cndmask_b32_e32 v17, 0, v17, vcc
	v_cmp_nlt_f32_e32 vcc, s15, v16
	v_cndmask_b32_e32 v16, v12, v17, vcc
	v_add_f32_e32 v16, 1.0, v16
	v_rcp_f32_e32 v16, v16
	v_fma_f32 v16, v16, -2.0, 1.0
.LBB10_5:                               ;   in Loop: Header=BB10_3 Depth=1
	s_andn2_saveexec_b64 s[4:5], s[4:5]
	s_cbranch_execz .LBB10_2
; %bb.6:                                ;   in Loop: Header=BB10_3 Depth=1
	v_mul_f32_e32 v16, v15, v15
	v_mov_b32_e32 v17, 0x3ca908c9
	v_fmac_f32_e32 v17, 0xbbbac73d, v16
	v_fma_f32 v17, v16, v17, v6
	v_fma_f32 v17, v16, v17, v7
	;; [unrolled: 1-line block ×3, first 2 shown]
	v_mul_f32_e64 v17, |v15|, v17
	v_fma_f32 v16, v16, v17, |v15|
	s_branch .LBB10_2
.LBB10_7:
	s_endpgm
	.section	.rodata,"a",@progbits
	.p2align	6, 0x0
	.amdhsa_kernel _ZN4vllm18act_and_mul_kernelIN3c104HalfETnPFT_RKS3_EXadL_ZNS_16gelu_tanh_kernelIS2_EES3_S5_EELb1EEEvPS3_PS4_i
		.amdhsa_group_segment_fixed_size 0
		.amdhsa_private_segment_fixed_size 0
		.amdhsa_kernarg_size 280
		.amdhsa_user_sgpr_count 6
		.amdhsa_user_sgpr_private_segment_buffer 1
		.amdhsa_user_sgpr_dispatch_ptr 0
		.amdhsa_user_sgpr_queue_ptr 0
		.amdhsa_user_sgpr_kernarg_segment_ptr 1
		.amdhsa_user_sgpr_dispatch_id 0
		.amdhsa_user_sgpr_flat_scratch_init 0
		.amdhsa_user_sgpr_kernarg_preload_length 0
		.amdhsa_user_sgpr_kernarg_preload_offset 0
		.amdhsa_user_sgpr_private_segment_size 0
		.amdhsa_uses_dynamic_stack 0
		.amdhsa_system_sgpr_private_segment_wavefront_offset 0
		.amdhsa_system_sgpr_workgroup_id_x 1
		.amdhsa_system_sgpr_workgroup_id_y 0
		.amdhsa_system_sgpr_workgroup_id_z 0
		.amdhsa_system_sgpr_workgroup_info 0
		.amdhsa_system_vgpr_workitem_id 0
		.amdhsa_next_free_vgpr 20
		.amdhsa_next_free_sgpr 20
		.amdhsa_accum_offset 20
		.amdhsa_reserve_vcc 1
		.amdhsa_reserve_flat_scratch 0
		.amdhsa_float_round_mode_32 0
		.amdhsa_float_round_mode_16_64 0
		.amdhsa_float_denorm_mode_32 3
		.amdhsa_float_denorm_mode_16_64 3
		.amdhsa_dx10_clamp 1
		.amdhsa_ieee_mode 1
		.amdhsa_fp16_overflow 0
		.amdhsa_tg_split 0
		.amdhsa_exception_fp_ieee_invalid_op 0
		.amdhsa_exception_fp_denorm_src 0
		.amdhsa_exception_fp_ieee_div_zero 0
		.amdhsa_exception_fp_ieee_overflow 0
		.amdhsa_exception_fp_ieee_underflow 0
		.amdhsa_exception_fp_ieee_inexact 0
		.amdhsa_exception_int_div_zero 0
	.end_amdhsa_kernel
	.section	.text._ZN4vllm18act_and_mul_kernelIN3c104HalfETnPFT_RKS3_EXadL_ZNS_16gelu_tanh_kernelIS2_EES3_S5_EELb1EEEvPS3_PS4_i,"axG",@progbits,_ZN4vllm18act_and_mul_kernelIN3c104HalfETnPFT_RKS3_EXadL_ZNS_16gelu_tanh_kernelIS2_EES3_S5_EELb1EEEvPS3_PS4_i,comdat
.Lfunc_end10:
	.size	_ZN4vllm18act_and_mul_kernelIN3c104HalfETnPFT_RKS3_EXadL_ZNS_16gelu_tanh_kernelIS2_EES3_S5_EELb1EEEvPS3_PS4_i, .Lfunc_end10-_ZN4vllm18act_and_mul_kernelIN3c104HalfETnPFT_RKS3_EXadL_ZNS_16gelu_tanh_kernelIS2_EES3_S5_EELb1EEEvPS3_PS4_i
                                        ; -- End function
	.section	.AMDGPU.csdata,"",@progbits
; Kernel info:
; codeLenInByte = 568
; NumSgprs: 24
; NumVgprs: 20
; NumAgprs: 0
; TotalNumVgprs: 20
; ScratchSize: 0
; MemoryBound: 0
; FloatMode: 240
; IeeeMode: 1
; LDSByteSize: 0 bytes/workgroup (compile time only)
; SGPRBlocks: 2
; VGPRBlocks: 2
; NumSGPRsForWavesPerEU: 24
; NumVGPRsForWavesPerEU: 20
; AccumOffset: 20
; Occupancy: 8
; WaveLimiterHint : 0
; COMPUTE_PGM_RSRC2:SCRATCH_EN: 0
; COMPUTE_PGM_RSRC2:USER_SGPR: 6
; COMPUTE_PGM_RSRC2:TRAP_HANDLER: 0
; COMPUTE_PGM_RSRC2:TGID_X_EN: 1
; COMPUTE_PGM_RSRC2:TGID_Y_EN: 0
; COMPUTE_PGM_RSRC2:TGID_Z_EN: 0
; COMPUTE_PGM_RSRC2:TIDIG_COMP_CNT: 0
; COMPUTE_PGM_RSRC3_GFX90A:ACCUM_OFFSET: 4
; COMPUTE_PGM_RSRC3_GFX90A:TG_SPLIT: 0
	.section	.text._ZN4vllm18act_and_mul_kernelIN3c108BFloat16ETnPFT_RKS3_EXadL_ZNS_16gelu_tanh_kernelIS2_EES3_S5_EELb1EEEvPS3_PS4_i,"axG",@progbits,_ZN4vllm18act_and_mul_kernelIN3c108BFloat16ETnPFT_RKS3_EXadL_ZNS_16gelu_tanh_kernelIS2_EES3_S5_EELb1EEEvPS3_PS4_i,comdat
	.protected	_ZN4vllm18act_and_mul_kernelIN3c108BFloat16ETnPFT_RKS3_EXadL_ZNS_16gelu_tanh_kernelIS2_EES3_S5_EELb1EEEvPS3_PS4_i ; -- Begin function _ZN4vllm18act_and_mul_kernelIN3c108BFloat16ETnPFT_RKS3_EXadL_ZNS_16gelu_tanh_kernelIS2_EES3_S5_EELb1EEEvPS3_PS4_i
	.globl	_ZN4vllm18act_and_mul_kernelIN3c108BFloat16ETnPFT_RKS3_EXadL_ZNS_16gelu_tanh_kernelIS2_EES3_S5_EELb1EEEvPS3_PS4_i
	.p2align	8
	.type	_ZN4vllm18act_and_mul_kernelIN3c108BFloat16ETnPFT_RKS3_EXadL_ZNS_16gelu_tanh_kernelIS2_EES3_S5_EELb1EEEvPS3_PS4_i,@function
_ZN4vllm18act_and_mul_kernelIN3c108BFloat16ETnPFT_RKS3_EXadL_ZNS_16gelu_tanh_kernelIS2_EES3_S5_EELb1EEEvPS3_PS4_i: ; @_ZN4vllm18act_and_mul_kernelIN3c108BFloat16ETnPFT_RKS3_EXadL_ZNS_16gelu_tanh_kernelIS2_EES3_S5_EELb1EEEvPS3_PS4_i
; %bb.0:
	s_load_dword s0, s[4:5], 0x10
	s_waitcnt lgkmcnt(0)
	v_cmp_gt_i32_e32 vcc, s0, v0
	s_and_saveexec_b64 s[2:3], vcc
	s_cbranch_execz .LBB11_7
; %bb.1:
	s_load_dwordx4 s[8:11], s[4:5], 0x0
	s_load_dword s12, s[4:5], 0x24
	s_ashr_i32 s1, s0, 31
	s_mul_hi_u32 s2, s6, s0
	s_mul_i32 s3, s6, s1
	s_add_i32 s3, s2, s3
	s_mul_i32 s2, s6, s0
	s_lshl_b64 s[6:7], s[2:3], 2
	s_waitcnt lgkmcnt(0)
	s_add_u32 s6, s10, s6
	s_addc_u32 s11, s11, s7
	s_lshl_b64 s[4:5], s[0:1], 1
	s_add_u32 s7, s6, s4
	s_addc_u32 s4, s11, s5
	s_lshl_b64 s[2:3], s[2:3], 1
	s_add_u32 s8, s8, s2
	s_mov_b32 s17, 0
	v_mov_b32_e32 v1, 0
	s_addc_u32 s5, s9, s3
	s_and_b32 s9, s12, 0xffff
	v_lshlrev_b32_e32 v2, 1, v0
	v_mov_b32_e32 v3, v1
	s_lshl_b32 s10, s9, 1
	s_mov_b64 s[2:3], 0
	v_mov_b32_e32 v4, s11
	v_mov_b32_e32 v5, s4
	s_mov_b32 s11, 0x3f200000
	s_mov_b32 s12, 0x3fb8aa3b
	;; [unrolled: 1-line block ×4, first 2 shown]
	v_mov_b32_e32 v6, 0xbd5c1c4e
	v_mov_b32_e32 v7, 0x3e088382
	;; [unrolled: 1-line block ×3, first 2 shown]
	s_brev_b32 s15, -2
	s_movk_i32 s16, 0x7fff
	v_mov_b32_e32 v9, 0x7fc00000
	v_mov_b32_e32 v10, 0x7fc0
	;; [unrolled: 1-line block ×6, first 2 shown]
	s_branch .LBB11_3
.LBB11_2:                               ;   in Loop: Header=BB11_3 Depth=1
	s_or_b64 exec, exec, s[4:5]
	v_bfi_b32 v17, s15, v18, v17
	v_mul_f32_e32 v16, 0.5, v16
	v_add_f32_e32 v17, 1.0, v17
	v_mul_f32_e32 v16, v16, v17
	v_bfe_u32 v17, v16, 16, 1
	v_add3_u32 v17, v16, v17, s16
	v_and_b32_e32 v17, 0xffff0000, v17
	v_cmp_o_f32_e32 vcc, v16, v16
	v_cndmask_b32_e32 v16, v9, v17, vcc
	s_waitcnt vmcnt(0)
	v_lshlrev_b32_e32 v15, 16, v15
	v_mul_f32_e32 v15, v16, v15
	v_bfe_u32 v16, v15, 16, 1
	v_add3_u32 v16, v15, v16, s16
	v_lshrrev_b32_e32 v16, 16, v16
	v_cmp_o_f32_e32 vcc, v15, v15
	v_cndmask_b32_e32 v15, v10, v16, vcc
	v_add_co_u32_e32 v16, vcc, s8, v2
	v_addc_co_u32_e32 v17, vcc, v11, v3, vcc
	v_add_co_u32_e32 v0, vcc, s9, v0
	v_addc_co_u32_e32 v1, vcc, v1, v12, vcc
	v_cmp_le_i64_e32 vcc, s[0:1], v[0:1]
	s_or_b64 s[2:3], vcc, s[2:3]
	v_add_co_u32_e32 v2, vcc, s10, v2
	v_addc_co_u32_e32 v3, vcc, v3, v13, vcc
	global_store_short v[16:17], v15, off
	s_andn2_b64 exec, exec, s[2:3]
	s_cbranch_execz .LBB11_7
.LBB11_3:                               ; =>This Inner Loop Header: Depth=1
	v_add_co_u32_e32 v16, vcc, s6, v2
	v_addc_co_u32_e32 v17, vcc, v4, v3, vcc
	global_load_ushort v18, v[16:17], off
	v_add_co_u32_e32 v16, vcc, s7, v2
	v_addc_co_u32_e32 v17, vcc, v5, v3, vcc
	global_load_ushort v15, v[16:17], off
	s_waitcnt vmcnt(1)
	v_lshlrev_b32_e32 v16, 16, v18
	v_mul_f32_e32 v17, v16, v16
	v_mul_f32_e32 v17, v17, v16
	v_mov_b32_e32 v18, v16
	v_fmac_f32_e32 v18, 0x3d372713, v17
	v_mul_f32_e32 v17, 0x3f4c422a, v18
	v_cmp_nlt_f32_e64 s[4:5], |v17|, s11
                                        ; implicit-def: $vgpr18
	s_and_saveexec_b64 s[18:19], s[4:5]
	s_xor_b64 s[4:5], exec, s[18:19]
	s_cbranch_execz .LBB11_5
; %bb.4:                                ;   in Loop: Header=BB11_3 Depth=1
	v_add_f32_e64 v18, |v17|, |v17|
	v_mul_f32_e32 v19, 0x3fb8aa3b, v18
	v_rndne_f32_e32 v20, v19
	v_sub_f32_e32 v21, v19, v20
	v_fma_f32 v19, v18, s12, -v19
	v_fmac_f32_e32 v19, 0x32a5705f, v18
	v_add_f32_e32 v19, v21, v19
	v_cvt_i32_f32_e32 v20, v20
	v_exp_f32_e32 v19, v19
	v_cmp_ngt_f32_e32 vcc, s13, v18
	v_ldexp_f32 v19, v19, v20
	v_cndmask_b32_e32 v19, 0, v19, vcc
	v_cmp_nlt_f32_e32 vcc, s14, v18
	v_cndmask_b32_e32 v18, v14, v19, vcc
	v_add_f32_e32 v18, 1.0, v18
	v_rcp_f32_e32 v18, v18
	v_fma_f32 v18, v18, -2.0, 1.0
.LBB11_5:                               ;   in Loop: Header=BB11_3 Depth=1
	s_andn2_saveexec_b64 s[4:5], s[4:5]
	s_cbranch_execz .LBB11_2
; %bb.6:                                ;   in Loop: Header=BB11_3 Depth=1
	v_mul_f32_e32 v18, v17, v17
	v_mov_b32_e32 v19, 0x3ca908c9
	v_fmac_f32_e32 v19, 0xbbbac73d, v18
	v_fma_f32 v19, v18, v19, v6
	v_fma_f32 v19, v18, v19, v7
	;; [unrolled: 1-line block ×3, first 2 shown]
	v_mul_f32_e64 v19, |v17|, v19
	v_fma_f32 v18, v18, v19, |v17|
	s_branch .LBB11_2
.LBB11_7:
	s_endpgm
	.section	.rodata,"a",@progbits
	.p2align	6, 0x0
	.amdhsa_kernel _ZN4vllm18act_and_mul_kernelIN3c108BFloat16ETnPFT_RKS3_EXadL_ZNS_16gelu_tanh_kernelIS2_EES3_S5_EELb1EEEvPS3_PS4_i
		.amdhsa_group_segment_fixed_size 0
		.amdhsa_private_segment_fixed_size 0
		.amdhsa_kernarg_size 280
		.amdhsa_user_sgpr_count 6
		.amdhsa_user_sgpr_private_segment_buffer 1
		.amdhsa_user_sgpr_dispatch_ptr 0
		.amdhsa_user_sgpr_queue_ptr 0
		.amdhsa_user_sgpr_kernarg_segment_ptr 1
		.amdhsa_user_sgpr_dispatch_id 0
		.amdhsa_user_sgpr_flat_scratch_init 0
		.amdhsa_user_sgpr_kernarg_preload_length 0
		.amdhsa_user_sgpr_kernarg_preload_offset 0
		.amdhsa_user_sgpr_private_segment_size 0
		.amdhsa_uses_dynamic_stack 0
		.amdhsa_system_sgpr_private_segment_wavefront_offset 0
		.amdhsa_system_sgpr_workgroup_id_x 1
		.amdhsa_system_sgpr_workgroup_id_y 0
		.amdhsa_system_sgpr_workgroup_id_z 0
		.amdhsa_system_sgpr_workgroup_info 0
		.amdhsa_system_vgpr_workitem_id 0
		.amdhsa_next_free_vgpr 22
		.amdhsa_next_free_sgpr 20
		.amdhsa_accum_offset 24
		.amdhsa_reserve_vcc 1
		.amdhsa_reserve_flat_scratch 0
		.amdhsa_float_round_mode_32 0
		.amdhsa_float_round_mode_16_64 0
		.amdhsa_float_denorm_mode_32 3
		.amdhsa_float_denorm_mode_16_64 3
		.amdhsa_dx10_clamp 1
		.amdhsa_ieee_mode 1
		.amdhsa_fp16_overflow 0
		.amdhsa_tg_split 0
		.amdhsa_exception_fp_ieee_invalid_op 0
		.amdhsa_exception_fp_denorm_src 0
		.amdhsa_exception_fp_ieee_div_zero 0
		.amdhsa_exception_fp_ieee_overflow 0
		.amdhsa_exception_fp_ieee_underflow 0
		.amdhsa_exception_fp_ieee_inexact 0
		.amdhsa_exception_int_div_zero 0
	.end_amdhsa_kernel
	.section	.text._ZN4vllm18act_and_mul_kernelIN3c108BFloat16ETnPFT_RKS3_EXadL_ZNS_16gelu_tanh_kernelIS2_EES3_S5_EELb1EEEvPS3_PS4_i,"axG",@progbits,_ZN4vllm18act_and_mul_kernelIN3c108BFloat16ETnPFT_RKS3_EXadL_ZNS_16gelu_tanh_kernelIS2_EES3_S5_EELb1EEEvPS3_PS4_i,comdat
.Lfunc_end11:
	.size	_ZN4vllm18act_and_mul_kernelIN3c108BFloat16ETnPFT_RKS3_EXadL_ZNS_16gelu_tanh_kernelIS2_EES3_S5_EELb1EEEvPS3_PS4_i, .Lfunc_end11-_ZN4vllm18act_and_mul_kernelIN3c108BFloat16ETnPFT_RKS3_EXadL_ZNS_16gelu_tanh_kernelIS2_EES3_S5_EELb1EEEvPS3_PS4_i
                                        ; -- End function
	.section	.AMDGPU.csdata,"",@progbits
; Kernel info:
; codeLenInByte = 644
; NumSgprs: 24
; NumVgprs: 22
; NumAgprs: 0
; TotalNumVgprs: 22
; ScratchSize: 0
; MemoryBound: 0
; FloatMode: 240
; IeeeMode: 1
; LDSByteSize: 0 bytes/workgroup (compile time only)
; SGPRBlocks: 2
; VGPRBlocks: 2
; NumSGPRsForWavesPerEU: 24
; NumVGPRsForWavesPerEU: 22
; AccumOffset: 24
; Occupancy: 8
; WaveLimiterHint : 0
; COMPUTE_PGM_RSRC2:SCRATCH_EN: 0
; COMPUTE_PGM_RSRC2:USER_SGPR: 6
; COMPUTE_PGM_RSRC2:TRAP_HANDLER: 0
; COMPUTE_PGM_RSRC2:TGID_X_EN: 1
; COMPUTE_PGM_RSRC2:TGID_Y_EN: 0
; COMPUTE_PGM_RSRC2:TGID_Z_EN: 0
; COMPUTE_PGM_RSRC2:TIDIG_COMP_CNT: 0
; COMPUTE_PGM_RSRC3_GFX90A:ACCUM_OFFSET: 5
; COMPUTE_PGM_RSRC3_GFX90A:TG_SPLIT: 0
	.section	.text._ZN4vllm29act_and_mul_kernel_with_paramIfTnPFT_RKS1_fEXadL_ZNS_14fatrelu_kernelIfEES1_S3_fEEEEvPS1_PS2_if,"axG",@progbits,_ZN4vllm29act_and_mul_kernel_with_paramIfTnPFT_RKS1_fEXadL_ZNS_14fatrelu_kernelIfEES1_S3_fEEEEvPS1_PS2_if,comdat
	.protected	_ZN4vllm29act_and_mul_kernel_with_paramIfTnPFT_RKS1_fEXadL_ZNS_14fatrelu_kernelIfEES1_S3_fEEEEvPS1_PS2_if ; -- Begin function _ZN4vllm29act_and_mul_kernel_with_paramIfTnPFT_RKS1_fEXadL_ZNS_14fatrelu_kernelIfEES1_S3_fEEEEvPS1_PS2_if
	.globl	_ZN4vllm29act_and_mul_kernel_with_paramIfTnPFT_RKS1_fEXadL_ZNS_14fatrelu_kernelIfEES1_S3_fEEEEvPS1_PS2_if
	.p2align	8
	.type	_ZN4vllm29act_and_mul_kernel_with_paramIfTnPFT_RKS1_fEXadL_ZNS_14fatrelu_kernelIfEES1_S3_fEEEEvPS1_PS2_if,@function
_ZN4vllm29act_and_mul_kernel_with_paramIfTnPFT_RKS1_fEXadL_ZNS_14fatrelu_kernelIfEES1_S3_fEEEEvPS1_PS2_if: ; @_ZN4vllm29act_and_mul_kernel_with_paramIfTnPFT_RKS1_fEXadL_ZNS_14fatrelu_kernelIfEES1_S3_fEEEEvPS1_PS2_if
; %bb.0:
	s_load_dwordx2 s[2:3], s[4:5], 0x10
	s_waitcnt lgkmcnt(0)
	v_cmp_gt_i32_e32 vcc, s2, v0
	s_and_saveexec_b64 s[0:1], vcc
	s_cbranch_execz .LBB12_12
; %bb.1:
	s_load_dwordx4 s[8:11], s[4:5], 0x0
	s_load_dword s0, s[4:5], 0x24
	s_ashr_i32 s5, s2, 31
	s_mov_b32 s4, s2
	v_mov_b32_e32 v2, s5
	v_mov_b32_e32 v1, 0
	s_waitcnt lgkmcnt(0)
	s_and_b32 s2, s0, 0xffff
	v_add_co_u32_e32 v4, vcc, s2, v0
	v_addc_co_u32_e64 v5, s[0:1], 0, 0, vcc
	v_cmp_lt_i64_e32 vcc, s[4:5], v[4:5]
	v_cndmask_b32_e32 v6, v2, v5, vcc
	v_mov_b32_e32 v2, s4
	v_cndmask_b32_e32 v3, v2, v4, vcc
	v_cmp_gt_i64_e32 vcc, s[4:5], v[4:5]
	v_cndmask_b32_e64 v2, 0, 1, vcc
	v_add_co_u32_e32 v4, vcc, v4, v2
	v_addc_co_u32_e32 v5, vcc, 0, v5, vcc
	v_sub_co_u32_e32 v3, vcc, v3, v4
	v_subb_co_u32_e32 v5, vcc, v6, v5, vcc
	v_mov_b32_e32 v4, v1
	s_mov_b32 s14, 0
	v_cmp_ne_u64_e32 vcc, 0, v[4:5]
                                        ; implicit-def: $vgpr6_vgpr7
	s_and_saveexec_b64 s[0:1], vcc
	s_xor_b64 s[12:13], exec, s[0:1]
	s_cbranch_execz .LBB12_3
; %bb.2:
	v_cvt_f32_u32_e32 v4, s2
	v_mov_b32_e32 v6, 0x4f800000
	s_sub_u32 s0, 0, s2
	s_subb_u32 s1, 0, 0
	v_mac_f32_e32 v4, 0, v6
	v_rcp_f32_e32 v4, v4
	v_mul_f32_e32 v4, 0x5f7ffffc, v4
	v_mul_f32_e32 v6, 0x2f800000, v4
	v_trunc_f32_e32 v6, v6
	v_madmk_f32 v4, v6, 0xcf800000, v4
	v_cvt_u32_f32_e32 v6, v6
	v_cvt_u32_f32_e32 v4, v4
	v_mul_lo_u32 v7, s0, v6
	v_mul_hi_u32 v9, s0, v4
	v_mul_lo_u32 v8, s1, v4
	v_add_u32_e32 v7, v9, v7
	v_mul_lo_u32 v10, s0, v4
	v_add_u32_e32 v7, v7, v8
	v_mul_hi_u32 v9, v4, v10
	v_mul_lo_u32 v11, v4, v7
	v_mul_hi_u32 v8, v4, v7
	v_add_co_u32_e32 v9, vcc, v9, v11
	v_addc_co_u32_e32 v8, vcc, 0, v8, vcc
	v_mul_hi_u32 v12, v6, v10
	v_mul_lo_u32 v10, v6, v10
	v_add_co_u32_e32 v9, vcc, v9, v10
	v_mul_hi_u32 v11, v6, v7
	v_addc_co_u32_e32 v8, vcc, v8, v12, vcc
	v_addc_co_u32_e32 v9, vcc, 0, v11, vcc
	v_mul_lo_u32 v7, v6, v7
	v_add_co_u32_e32 v7, vcc, v8, v7
	v_addc_co_u32_e32 v8, vcc, 0, v9, vcc
	v_add_co_u32_e32 v4, vcc, v4, v7
	v_addc_co_u32_e32 v6, vcc, v6, v8, vcc
	v_mul_lo_u32 v7, s0, v6
	v_mul_hi_u32 v8, s0, v4
	v_add_u32_e32 v7, v8, v7
	v_mul_lo_u32 v8, s1, v4
	v_add_u32_e32 v7, v7, v8
	v_mul_lo_u32 v9, s0, v4
	v_mul_hi_u32 v10, v6, v9
	v_mul_lo_u32 v11, v6, v9
	v_mul_lo_u32 v13, v4, v7
	v_mul_hi_u32 v9, v4, v9
	v_mul_hi_u32 v12, v4, v7
	v_add_co_u32_e32 v9, vcc, v9, v13
	v_addc_co_u32_e32 v12, vcc, 0, v12, vcc
	v_add_co_u32_e32 v9, vcc, v9, v11
	v_mul_hi_u32 v8, v6, v7
	v_addc_co_u32_e32 v9, vcc, v12, v10, vcc
	v_addc_co_u32_e32 v8, vcc, 0, v8, vcc
	v_mul_lo_u32 v7, v6, v7
	v_add_co_u32_e32 v7, vcc, v9, v7
	v_addc_co_u32_e32 v8, vcc, 0, v8, vcc
	v_add_co_u32_e32 v4, vcc, v4, v7
	v_addc_co_u32_e32 v8, vcc, v6, v8, vcc
	v_mad_u64_u32 v[6:7], s[0:1], v3, v8, 0
	v_mul_hi_u32 v9, v3, v4
	v_add_co_u32_e32 v10, vcc, v9, v6
	v_addc_co_u32_e32 v11, vcc, 0, v7, vcc
	v_mad_u64_u32 v[6:7], s[0:1], v5, v8, 0
	v_mad_u64_u32 v[8:9], s[0:1], v5, v4, 0
	v_add_co_u32_e32 v4, vcc, v10, v8
	v_addc_co_u32_e32 v4, vcc, v11, v9, vcc
	v_addc_co_u32_e32 v7, vcc, 0, v7, vcc
	v_add_co_u32_e32 v10, vcc, v4, v6
	v_addc_co_u32_e32 v11, vcc, 0, v7, vcc
	v_mad_u64_u32 v[6:7], s[0:1], s2, v10, 0
	v_mov_b32_e32 v4, v7
	v_mad_u64_u32 v[8:9], s[0:1], s2, v11, v[4:5]
	v_sub_co_u32_e32 v3, vcc, v3, v6
	v_subb_co_u32_e32 v4, vcc, v5, v8, vcc
	v_subrev_co_u32_e32 v5, vcc, s2, v3
	v_subbrev_co_u32_e32 v6, vcc, 0, v4, vcc
	v_cmp_le_u32_e32 vcc, s2, v5
	v_cndmask_b32_e64 v5, 0, -1, vcc
	v_cmp_eq_u32_e32 vcc, 0, v6
	v_cndmask_b32_e32 v5, -1, v5, vcc
	v_add_co_u32_e32 v6, vcc, 2, v10
	v_addc_co_u32_e32 v7, vcc, 0, v11, vcc
	v_add_co_u32_e32 v8, vcc, 1, v10
	v_cmp_le_u32_e64 s[0:1], s2, v3
	v_addc_co_u32_e32 v9, vcc, 0, v11, vcc
	v_cndmask_b32_e64 v3, 0, -1, s[0:1]
	v_cmp_eq_u32_e64 s[0:1], 0, v4
	v_cmp_ne_u32_e32 vcc, 0, v5
	v_cndmask_b32_e64 v3, -1, v3, s[0:1]
	v_cndmask_b32_e32 v5, v9, v7, vcc
	v_cmp_ne_u32_e64 s[0:1], 0, v3
	v_cndmask_b32_e32 v3, v8, v6, vcc
	v_cndmask_b32_e64 v7, v11, v5, s[0:1]
	v_cndmask_b32_e64 v6, v10, v3, s[0:1]
                                        ; implicit-def: $vgpr3
.LBB12_3:
	s_andn2_saveexec_b64 s[0:1], s[12:13]
	s_cbranch_execz .LBB12_5
; %bb.4:
	v_cvt_f32_u32_e32 v4, s2
	s_sub_i32 s7, 0, s2
	v_mov_b32_e32 v7, 0
	v_rcp_iflag_f32_e32 v4, v4
	v_mul_f32_e32 v4, 0x4f7ffffe, v4
	v_cvt_u32_f32_e32 v4, v4
	v_mul_lo_u32 v5, s7, v4
	v_mul_hi_u32 v5, v4, v5
	v_add_u32_e32 v4, v4, v5
	v_mul_hi_u32 v4, v3, v4
	v_mul_lo_u32 v5, v4, s2
	v_sub_u32_e32 v3, v3, v5
	v_add_u32_e32 v6, 1, v4
	v_subrev_u32_e32 v5, s2, v3
	v_cmp_le_u32_e32 vcc, s2, v3
	v_cndmask_b32_e32 v3, v3, v5, vcc
	v_cndmask_b32_e32 v4, v4, v6, vcc
	v_add_u32_e32 v5, 1, v4
	v_cmp_le_u32_e32 vcc, s2, v3
	v_cndmask_b32_e32 v6, v4, v5, vcc
.LBB12_5:
	s_or_b64 exec, exec, s[0:1]
	s_mul_i32 s0, s6, s5
	s_mul_hi_u32 s1, s6, s4
	s_add_i32 s1, s1, s0
	s_mul_i32 s0, s6, s4
	s_lshl_b64 s[6:7], s[0:1], 3
	s_add_u32 s10, s10, s6
	s_addc_u32 s12, s11, s7
	s_lshl_b64 s[6:7], s[4:5], 2
	v_add_co_u32_e32 v2, vcc, v6, v2
	s_add_u32 s11, s10, s6
	v_addc_co_u32_e32 v3, vcc, 0, v7, vcc
	s_addc_u32 s13, s12, s7
	s_lshl_b64 s[0:1], s[0:1], 2
	v_add_co_u32_e32 v2, vcc, 1, v2
	s_add_u32 s8, s8, s0
	v_addc_co_u32_e32 v3, vcc, 0, v3, vcc
	s_addc_u32 s9, s9, s1
	v_cmp_lt_u64_e32 vcc, 1, v[2:3]
	v_cmp_eq_u16_e64 s[0:1], s2, 1
	s_and_b64 s[16:17], vcc, s[0:1]
	s_mov_b64 s[6:7], -1
	s_and_saveexec_b64 s[0:1], s[16:17]
	s_cbranch_execz .LBB12_9
; %bb.6:
	v_and_b32_e32 v4, -2, v2
	v_mov_b32_e32 v5, v3
	s_mov_b32 s17, 0
	s_mov_b32 s15, s3
	v_lshlrev_b32_e32 v6, 2, v0
	v_mov_b32_e32 v7, 0
	s_lshl_b32 s16, s2, 3
	s_mov_b64 s[6:7], 0
	v_mov_b32_e32 v10, s12
	v_mov_b32_e32 v11, s13
	;; [unrolled: 1-line block ×4, first 2 shown]
	v_pk_mov_b32 v[8:9], v[4:5], v[4:5] op_sel:[0,1]
.LBB12_7:                               ; =>This Inner Loop Header: Depth=1
	v_add_co_u32_e32 v14, vcc, s10, v6
	v_addc_co_u32_e32 v15, vcc, v10, v7, vcc
	v_add_co_u32_e32 v16, vcc, s11, v6
	v_addc_co_u32_e32 v17, vcc, v11, v7, vcc
	global_load_dwordx2 v[18:19], v[14:15], off
	global_load_dwordx2 v[20:21], v[16:17], off
	v_add_co_u32_e32 v14, vcc, s8, v6
	v_addc_co_u32_e32 v15, vcc, v12, v7, vcc
	v_add_co_u32_e32 v8, vcc, -2, v8
	v_addc_co_u32_e32 v9, vcc, -1, v9, vcc
	v_add_co_u32_e32 v6, vcc, s16, v6
	v_addc_co_u32_e32 v7, vcc, v7, v13, vcc
	v_cmp_eq_u64_e32 vcc, 0, v[8:9]
	s_or_b64 s[6:7], vcc, s[6:7]
	s_waitcnt vmcnt(1)
	v_cmp_lt_f32_e32 vcc, s3, v19
	v_cndmask_b32_e32 v17, 0, v19, vcc
	v_cmp_lt_f32_e32 vcc, s15, v18
	v_cndmask_b32_e32 v16, 0, v18, vcc
	s_waitcnt vmcnt(0)
	v_pk_mul_f32 v[16:17], v[20:21], v[16:17]
	global_store_dwordx2 v[14:15], v[16:17], off
	s_andn2_b64 exec, exec, s[6:7]
	s_cbranch_execnz .LBB12_7
; %bb.8:
	s_or_b64 exec, exec, s[6:7]
	v_mad_u64_u32 v[0:1], s[6:7], v4, s2, v[0:1]
	v_mov_b32_e32 v6, v1
	v_mad_u64_u32 v[6:7], s[6:7], v5, s2, v[6:7]
	v_cmp_ne_u64_e32 vcc, v[2:3], v[4:5]
	v_mov_b32_e32 v1, v6
	s_orn2_b64 s[6:7], vcc, exec
.LBB12_9:
	s_or_b64 exec, exec, s[0:1]
	s_and_b64 exec, exec, s[6:7]
	s_cbranch_execz .LBB12_12
; %bb.10:
	s_mov_b32 s7, 0
	v_lshlrev_b64 v[2:3], 2, v[0:1]
	s_lshl_b32 s6, s2, 2
	s_mov_b64 s[0:1], 0
	v_mov_b32_e32 v4, s12
	v_mov_b32_e32 v5, s13
	;; [unrolled: 1-line block ×5, first 2 shown]
.LBB12_11:                              ; =>This Inner Loop Header: Depth=1
	v_add_co_u32_e32 v10, vcc, s10, v2
	v_addc_co_u32_e32 v11, vcc, v4, v3, vcc
	v_add_co_u32_e32 v12, vcc, s11, v2
	v_addc_co_u32_e32 v13, vcc, v5, v3, vcc
	global_load_dword v9, v[10:11], off
	global_load_dword v14, v[12:13], off
	v_add_co_u32_e32 v10, vcc, s8, v2
	v_addc_co_u32_e32 v11, vcc, v6, v3, vcc
	v_add_co_u32_e32 v0, vcc, s2, v0
	v_addc_co_u32_e32 v1, vcc, v1, v7, vcc
	;; [unrolled: 2-line block ×3, first 2 shown]
	v_cmp_le_i64_e32 vcc, s[4:5], v[0:1]
	s_or_b64 s[0:1], vcc, s[0:1]
	s_waitcnt vmcnt(1)
	v_cmp_lt_f32_e32 vcc, s3, v9
	v_cndmask_b32_e32 v9, 0, v9, vcc
	s_waitcnt vmcnt(0)
	v_mul_f32_e32 v9, v14, v9
	global_store_dword v[10:11], v9, off
	s_andn2_b64 exec, exec, s[0:1]
	s_cbranch_execnz .LBB12_11
.LBB12_12:
	s_endpgm
	.section	.rodata,"a",@progbits
	.p2align	6, 0x0
	.amdhsa_kernel _ZN4vllm29act_and_mul_kernel_with_paramIfTnPFT_RKS1_fEXadL_ZNS_14fatrelu_kernelIfEES1_S3_fEEEEvPS1_PS2_if
		.amdhsa_group_segment_fixed_size 0
		.amdhsa_private_segment_fixed_size 0
		.amdhsa_kernarg_size 280
		.amdhsa_user_sgpr_count 6
		.amdhsa_user_sgpr_private_segment_buffer 1
		.amdhsa_user_sgpr_dispatch_ptr 0
		.amdhsa_user_sgpr_queue_ptr 0
		.amdhsa_user_sgpr_kernarg_segment_ptr 1
		.amdhsa_user_sgpr_dispatch_id 0
		.amdhsa_user_sgpr_flat_scratch_init 0
		.amdhsa_user_sgpr_kernarg_preload_length 0
		.amdhsa_user_sgpr_kernarg_preload_offset 0
		.amdhsa_user_sgpr_private_segment_size 0
		.amdhsa_uses_dynamic_stack 0
		.amdhsa_system_sgpr_private_segment_wavefront_offset 0
		.amdhsa_system_sgpr_workgroup_id_x 1
		.amdhsa_system_sgpr_workgroup_id_y 0
		.amdhsa_system_sgpr_workgroup_id_z 0
		.amdhsa_system_sgpr_workgroup_info 0
		.amdhsa_system_vgpr_workitem_id 0
		.amdhsa_next_free_vgpr 22
		.amdhsa_next_free_sgpr 18
		.amdhsa_accum_offset 24
		.amdhsa_reserve_vcc 1
		.amdhsa_reserve_flat_scratch 0
		.amdhsa_float_round_mode_32 0
		.amdhsa_float_round_mode_16_64 0
		.amdhsa_float_denorm_mode_32 3
		.amdhsa_float_denorm_mode_16_64 3
		.amdhsa_dx10_clamp 1
		.amdhsa_ieee_mode 1
		.amdhsa_fp16_overflow 0
		.amdhsa_tg_split 0
		.amdhsa_exception_fp_ieee_invalid_op 0
		.amdhsa_exception_fp_denorm_src 0
		.amdhsa_exception_fp_ieee_div_zero 0
		.amdhsa_exception_fp_ieee_overflow 0
		.amdhsa_exception_fp_ieee_underflow 0
		.amdhsa_exception_fp_ieee_inexact 0
		.amdhsa_exception_int_div_zero 0
	.end_amdhsa_kernel
	.section	.text._ZN4vllm29act_and_mul_kernel_with_paramIfTnPFT_RKS1_fEXadL_ZNS_14fatrelu_kernelIfEES1_S3_fEEEEvPS1_PS2_if,"axG",@progbits,_ZN4vllm29act_and_mul_kernel_with_paramIfTnPFT_RKS1_fEXadL_ZNS_14fatrelu_kernelIfEES1_S3_fEEEEvPS1_PS2_if,comdat
.Lfunc_end12:
	.size	_ZN4vllm29act_and_mul_kernel_with_paramIfTnPFT_RKS1_fEXadL_ZNS_14fatrelu_kernelIfEES1_S3_fEEEEvPS1_PS2_if, .Lfunc_end12-_ZN4vllm29act_and_mul_kernel_with_paramIfTnPFT_RKS1_fEXadL_ZNS_14fatrelu_kernelIfEES1_S3_fEEEEvPS1_PS2_if
                                        ; -- End function
	.section	.AMDGPU.csdata,"",@progbits
; Kernel info:
; codeLenInByte = 1248
; NumSgprs: 22
; NumVgprs: 22
; NumAgprs: 0
; TotalNumVgprs: 22
; ScratchSize: 0
; MemoryBound: 0
; FloatMode: 240
; IeeeMode: 1
; LDSByteSize: 0 bytes/workgroup (compile time only)
; SGPRBlocks: 2
; VGPRBlocks: 2
; NumSGPRsForWavesPerEU: 22
; NumVGPRsForWavesPerEU: 22
; AccumOffset: 24
; Occupancy: 8
; WaveLimiterHint : 0
; COMPUTE_PGM_RSRC2:SCRATCH_EN: 0
; COMPUTE_PGM_RSRC2:USER_SGPR: 6
; COMPUTE_PGM_RSRC2:TRAP_HANDLER: 0
; COMPUTE_PGM_RSRC2:TGID_X_EN: 1
; COMPUTE_PGM_RSRC2:TGID_Y_EN: 0
; COMPUTE_PGM_RSRC2:TGID_Z_EN: 0
; COMPUTE_PGM_RSRC2:TIDIG_COMP_CNT: 0
; COMPUTE_PGM_RSRC3_GFX90A:ACCUM_OFFSET: 5
; COMPUTE_PGM_RSRC3_GFX90A:TG_SPLIT: 0
	.section	.text._ZN4vllm29act_and_mul_kernel_with_paramIN3c104HalfETnPFT_RKS3_fEXadL_ZNS_14fatrelu_kernelIS2_EES3_S5_fEEEEvPS3_PS4_if,"axG",@progbits,_ZN4vllm29act_and_mul_kernel_with_paramIN3c104HalfETnPFT_RKS3_fEXadL_ZNS_14fatrelu_kernelIS2_EES3_S5_fEEEEvPS3_PS4_if,comdat
	.protected	_ZN4vllm29act_and_mul_kernel_with_paramIN3c104HalfETnPFT_RKS3_fEXadL_ZNS_14fatrelu_kernelIS2_EES3_S5_fEEEEvPS3_PS4_if ; -- Begin function _ZN4vllm29act_and_mul_kernel_with_paramIN3c104HalfETnPFT_RKS3_fEXadL_ZNS_14fatrelu_kernelIS2_EES3_S5_fEEEEvPS3_PS4_if
	.globl	_ZN4vllm29act_and_mul_kernel_with_paramIN3c104HalfETnPFT_RKS3_fEXadL_ZNS_14fatrelu_kernelIS2_EES3_S5_fEEEEvPS3_PS4_if
	.p2align	8
	.type	_ZN4vllm29act_and_mul_kernel_with_paramIN3c104HalfETnPFT_RKS3_fEXadL_ZNS_14fatrelu_kernelIS2_EES3_S5_fEEEEvPS3_PS4_if,@function
_ZN4vllm29act_and_mul_kernel_with_paramIN3c104HalfETnPFT_RKS3_fEXadL_ZNS_14fatrelu_kernelIS2_EES3_S5_fEEEEvPS3_PS4_if: ; @_ZN4vllm29act_and_mul_kernel_with_paramIN3c104HalfETnPFT_RKS3_fEXadL_ZNS_14fatrelu_kernelIS2_EES3_S5_fEEEEvPS3_PS4_if
; %bb.0:
	s_load_dwordx2 s[2:3], s[4:5], 0x10
	s_waitcnt lgkmcnt(0)
	v_cmp_gt_i32_e32 vcc, s2, v0
	s_and_saveexec_b64 s[0:1], vcc
	s_cbranch_execz .LBB13_12
; %bb.1:
	s_load_dwordx4 s[8:11], s[4:5], 0x0
	s_load_dword s0, s[4:5], 0x24
	s_ashr_i32 s5, s2, 31
	s_mov_b32 s4, s2
	v_mov_b32_e32 v2, s5
	v_mov_b32_e32 v1, 0
	s_waitcnt lgkmcnt(0)
	s_and_b32 s2, s0, 0xffff
	v_add_co_u32_e32 v4, vcc, s2, v0
	v_addc_co_u32_e64 v5, s[0:1], 0, 0, vcc
	v_cmp_lt_i64_e32 vcc, s[4:5], v[4:5]
	v_cndmask_b32_e32 v6, v2, v5, vcc
	v_mov_b32_e32 v2, s4
	v_cndmask_b32_e32 v3, v2, v4, vcc
	v_cmp_gt_i64_e32 vcc, s[4:5], v[4:5]
	v_cndmask_b32_e64 v2, 0, 1, vcc
	v_add_co_u32_e32 v4, vcc, v4, v2
	v_addc_co_u32_e32 v5, vcc, 0, v5, vcc
	v_sub_co_u32_e32 v3, vcc, v3, v4
	v_subb_co_u32_e32 v5, vcc, v6, v5, vcc
	v_mov_b32_e32 v4, v1
	s_mov_b32 s14, 0
	v_cmp_ne_u64_e32 vcc, 0, v[4:5]
                                        ; implicit-def: $vgpr6_vgpr7
	s_and_saveexec_b64 s[0:1], vcc
	s_xor_b64 s[12:13], exec, s[0:1]
	s_cbranch_execz .LBB13_3
; %bb.2:
	v_cvt_f32_u32_e32 v4, s2
	v_mov_b32_e32 v6, 0x4f800000
	s_sub_u32 s0, 0, s2
	s_subb_u32 s1, 0, 0
	v_mac_f32_e32 v4, 0, v6
	v_rcp_f32_e32 v4, v4
	v_mul_f32_e32 v4, 0x5f7ffffc, v4
	v_mul_f32_e32 v6, 0x2f800000, v4
	v_trunc_f32_e32 v6, v6
	v_madmk_f32 v4, v6, 0xcf800000, v4
	v_cvt_u32_f32_e32 v6, v6
	v_cvt_u32_f32_e32 v4, v4
	v_mul_lo_u32 v7, s0, v6
	v_mul_hi_u32 v9, s0, v4
	v_mul_lo_u32 v8, s1, v4
	v_add_u32_e32 v7, v9, v7
	v_mul_lo_u32 v10, s0, v4
	v_add_u32_e32 v7, v7, v8
	v_mul_hi_u32 v9, v4, v10
	v_mul_lo_u32 v11, v4, v7
	v_mul_hi_u32 v8, v4, v7
	v_add_co_u32_e32 v9, vcc, v9, v11
	v_addc_co_u32_e32 v8, vcc, 0, v8, vcc
	v_mul_hi_u32 v12, v6, v10
	v_mul_lo_u32 v10, v6, v10
	v_add_co_u32_e32 v9, vcc, v9, v10
	v_mul_hi_u32 v11, v6, v7
	v_addc_co_u32_e32 v8, vcc, v8, v12, vcc
	v_addc_co_u32_e32 v9, vcc, 0, v11, vcc
	v_mul_lo_u32 v7, v6, v7
	v_add_co_u32_e32 v7, vcc, v8, v7
	v_addc_co_u32_e32 v8, vcc, 0, v9, vcc
	v_add_co_u32_e32 v4, vcc, v4, v7
	v_addc_co_u32_e32 v6, vcc, v6, v8, vcc
	v_mul_lo_u32 v7, s0, v6
	v_mul_hi_u32 v8, s0, v4
	v_add_u32_e32 v7, v8, v7
	v_mul_lo_u32 v8, s1, v4
	v_add_u32_e32 v7, v7, v8
	v_mul_lo_u32 v9, s0, v4
	v_mul_hi_u32 v10, v6, v9
	v_mul_lo_u32 v11, v6, v9
	v_mul_lo_u32 v13, v4, v7
	v_mul_hi_u32 v9, v4, v9
	v_mul_hi_u32 v12, v4, v7
	v_add_co_u32_e32 v9, vcc, v9, v13
	v_addc_co_u32_e32 v12, vcc, 0, v12, vcc
	v_add_co_u32_e32 v9, vcc, v9, v11
	v_mul_hi_u32 v8, v6, v7
	v_addc_co_u32_e32 v9, vcc, v12, v10, vcc
	v_addc_co_u32_e32 v8, vcc, 0, v8, vcc
	v_mul_lo_u32 v7, v6, v7
	v_add_co_u32_e32 v7, vcc, v9, v7
	v_addc_co_u32_e32 v8, vcc, 0, v8, vcc
	v_add_co_u32_e32 v4, vcc, v4, v7
	v_addc_co_u32_e32 v8, vcc, v6, v8, vcc
	v_mad_u64_u32 v[6:7], s[0:1], v3, v8, 0
	v_mul_hi_u32 v9, v3, v4
	v_add_co_u32_e32 v10, vcc, v9, v6
	v_addc_co_u32_e32 v11, vcc, 0, v7, vcc
	v_mad_u64_u32 v[6:7], s[0:1], v5, v8, 0
	v_mad_u64_u32 v[8:9], s[0:1], v5, v4, 0
	v_add_co_u32_e32 v4, vcc, v10, v8
	v_addc_co_u32_e32 v4, vcc, v11, v9, vcc
	v_addc_co_u32_e32 v7, vcc, 0, v7, vcc
	v_add_co_u32_e32 v10, vcc, v4, v6
	v_addc_co_u32_e32 v11, vcc, 0, v7, vcc
	v_mad_u64_u32 v[6:7], s[0:1], s2, v10, 0
	v_mov_b32_e32 v4, v7
	v_mad_u64_u32 v[8:9], s[0:1], s2, v11, v[4:5]
	v_sub_co_u32_e32 v3, vcc, v3, v6
	v_subb_co_u32_e32 v4, vcc, v5, v8, vcc
	v_subrev_co_u32_e32 v5, vcc, s2, v3
	v_subbrev_co_u32_e32 v6, vcc, 0, v4, vcc
	v_cmp_le_u32_e32 vcc, s2, v5
	v_cndmask_b32_e64 v5, 0, -1, vcc
	v_cmp_eq_u32_e32 vcc, 0, v6
	v_cndmask_b32_e32 v5, -1, v5, vcc
	v_add_co_u32_e32 v6, vcc, 2, v10
	v_addc_co_u32_e32 v7, vcc, 0, v11, vcc
	v_add_co_u32_e32 v8, vcc, 1, v10
	v_cmp_le_u32_e64 s[0:1], s2, v3
	v_addc_co_u32_e32 v9, vcc, 0, v11, vcc
	v_cndmask_b32_e64 v3, 0, -1, s[0:1]
	v_cmp_eq_u32_e64 s[0:1], 0, v4
	v_cmp_ne_u32_e32 vcc, 0, v5
	v_cndmask_b32_e64 v3, -1, v3, s[0:1]
	v_cndmask_b32_e32 v5, v9, v7, vcc
	v_cmp_ne_u32_e64 s[0:1], 0, v3
	v_cndmask_b32_e32 v3, v8, v6, vcc
	v_cndmask_b32_e64 v7, v11, v5, s[0:1]
	v_cndmask_b32_e64 v6, v10, v3, s[0:1]
                                        ; implicit-def: $vgpr3
.LBB13_3:
	s_andn2_saveexec_b64 s[0:1], s[12:13]
	s_cbranch_execz .LBB13_5
; %bb.4:
	v_cvt_f32_u32_e32 v4, s2
	s_sub_i32 s7, 0, s2
	v_mov_b32_e32 v7, 0
	v_rcp_iflag_f32_e32 v4, v4
	v_mul_f32_e32 v4, 0x4f7ffffe, v4
	v_cvt_u32_f32_e32 v4, v4
	v_mul_lo_u32 v5, s7, v4
	v_mul_hi_u32 v5, v4, v5
	v_add_u32_e32 v4, v4, v5
	v_mul_hi_u32 v4, v3, v4
	v_mul_lo_u32 v5, v4, s2
	v_sub_u32_e32 v3, v3, v5
	v_add_u32_e32 v6, 1, v4
	v_subrev_u32_e32 v5, s2, v3
	v_cmp_le_u32_e32 vcc, s2, v3
	v_cndmask_b32_e32 v3, v3, v5, vcc
	v_cndmask_b32_e32 v4, v4, v6, vcc
	v_add_u32_e32 v5, 1, v4
	v_cmp_le_u32_e32 vcc, s2, v3
	v_cndmask_b32_e32 v6, v4, v5, vcc
.LBB13_5:
	s_or_b64 exec, exec, s[0:1]
	s_mul_i32 s0, s6, s5
	s_mul_hi_u32 s1, s6, s4
	s_add_i32 s1, s1, s0
	s_mul_i32 s0, s6, s4
	s_lshl_b64 s[6:7], s[0:1], 2
	s_add_u32 s10, s10, s6
	s_addc_u32 s12, s11, s7
	s_lshl_b64 s[6:7], s[4:5], 1
	v_add_co_u32_e32 v2, vcc, v6, v2
	s_add_u32 s11, s10, s6
	v_addc_co_u32_e32 v3, vcc, 0, v7, vcc
	s_addc_u32 s13, s12, s7
	s_lshl_b64 s[0:1], s[0:1], 1
	v_add_co_u32_e32 v2, vcc, 1, v2
	s_add_u32 s8, s8, s0
	v_addc_co_u32_e32 v3, vcc, 0, v3, vcc
	s_addc_u32 s9, s9, s1
	v_cmp_lt_u64_e32 vcc, 3, v[2:3]
	v_cmp_eq_u16_e64 s[0:1], s2, 1
	s_and_b64 s[16:17], vcc, s[0:1]
	s_mov_b64 s[6:7], -1
	s_and_saveexec_b64 s[0:1], s[16:17]
	s_cbranch_execz .LBB13_9
; %bb.6:
	v_and_b32_e32 v4, -4, v2
	v_mov_b32_e32 v5, v3
	s_mov_b32 s20, 0
	s_mov_b32 s15, s3
	;; [unrolled: 1-line block ×4, first 2 shown]
	v_lshlrev_b32_e32 v6, 1, v0
	v_mov_b32_e32 v7, 0
	s_lshl_b32 s18, s2, 3
	s_mov_b64 s[6:7], 0
	v_mov_b32_e32 v10, s12
	v_mov_b32_e32 v11, s13
	s_mov_b32 s19, 0x5040100
	v_mov_b32_e32 v12, s9
	v_mov_b32_e32 v13, s20
	v_pk_mov_b32 v[8:9], v[4:5], v[4:5] op_sel:[0,1]
.LBB13_7:                               ; =>This Inner Loop Header: Depth=1
	v_add_co_u32_e32 v14, vcc, s10, v6
	v_addc_co_u32_e32 v15, vcc, v10, v7, vcc
	global_load_dwordx2 v[14:15], v[14:15], off
	v_add_co_u32_e32 v16, vcc, s11, v6
	v_addc_co_u32_e32 v17, vcc, v11, v7, vcc
	global_load_dwordx2 v[16:17], v[16:17], off
	v_add_co_u32_e32 v18, vcc, s8, v6
	v_addc_co_u32_e32 v19, vcc, v12, v7, vcc
	v_add_co_u32_e32 v8, vcc, -4, v8
	v_addc_co_u32_e32 v9, vcc, -1, v9, vcc
	v_add_co_u32_e32 v6, vcc, s18, v6
	v_addc_co_u32_e32 v7, vcc, v7, v13, vcc
	v_cmp_eq_u64_e32 vcc, 0, v[8:9]
	s_or_b64 s[6:7], vcc, s[6:7]
	s_waitcnt vmcnt(1)
	v_cvt_f32_f16_e32 v20, v14
	v_lshrrev_b32_e32 v21, 16, v14
	v_cvt_f32_f16_e32 v22, v15
	v_lshrrev_b32_e32 v23, 16, v15
	v_cvt_f32_f16_e32 v24, v21
	v_cvt_f32_f16_e32 v25, v23
	v_cmp_lt_f32_e32 vcc, s15, v20
	v_cndmask_b32_e32 v14, 0, v14, vcc
	v_cmp_lt_f32_e32 vcc, s16, v22
	v_cndmask_b32_e32 v15, 0, v15, vcc
	;; [unrolled: 2-line block ×4, first 2 shown]
	v_perm_b32 v15, v21, v15, s19
	v_perm_b32 v14, v20, v14, s19
	s_waitcnt vmcnt(0)
	v_pk_mul_f16 v15, v17, v15
	v_pk_mul_f16 v14, v16, v14
	global_store_dwordx2 v[18:19], v[14:15], off
	s_andn2_b64 exec, exec, s[6:7]
	s_cbranch_execnz .LBB13_7
; %bb.8:
	s_or_b64 exec, exec, s[6:7]
	v_mad_u64_u32 v[0:1], s[6:7], v4, s2, v[0:1]
	v_mov_b32_e32 v6, v1
	v_mad_u64_u32 v[6:7], s[6:7], v5, s2, v[6:7]
	v_cmp_ne_u64_e32 vcc, v[2:3], v[4:5]
	v_mov_b32_e32 v1, v6
	s_orn2_b64 s[6:7], vcc, exec
.LBB13_9:
	s_or_b64 exec, exec, s[0:1]
	s_and_b64 exec, exec, s[6:7]
	s_cbranch_execz .LBB13_12
; %bb.10:
	s_mov_b32 s7, 0
	v_lshlrev_b64 v[2:3], 1, v[0:1]
	s_lshl_b32 s6, s2, 1
	s_mov_b64 s[0:1], 0
	v_mov_b32_e32 v4, s12
	v_mov_b32_e32 v5, s13
	;; [unrolled: 1-line block ×5, first 2 shown]
.LBB13_11:                              ; =>This Inner Loop Header: Depth=1
	v_add_co_u32_e32 v10, vcc, s10, v2
	v_addc_co_u32_e32 v11, vcc, v4, v3, vcc
	global_load_ushort v9, v[10:11], off
	v_add_co_u32_e32 v10, vcc, s11, v2
	v_addc_co_u32_e32 v11, vcc, v5, v3, vcc
	global_load_ushort v12, v[10:11], off
	v_add_co_u32_e32 v10, vcc, s8, v2
	v_addc_co_u32_e32 v11, vcc, v6, v3, vcc
	v_add_co_u32_e32 v0, vcc, s2, v0
	v_addc_co_u32_e32 v1, vcc, v1, v7, vcc
	;; [unrolled: 2-line block ×3, first 2 shown]
	v_cmp_le_i64_e32 vcc, s[4:5], v[0:1]
	s_or_b64 s[0:1], vcc, s[0:1]
	s_waitcnt vmcnt(1)
	v_cvt_f32_f16_e32 v13, v9
	v_cmp_lt_f32_e32 vcc, s3, v13
	v_cndmask_b32_e32 v9, 0, v9, vcc
	s_waitcnt vmcnt(0)
	v_mul_f16_e32 v9, v12, v9
	global_store_short v[10:11], v9, off
	s_andn2_b64 exec, exec, s[0:1]
	s_cbranch_execnz .LBB13_11
.LBB13_12:
	s_endpgm
	.section	.rodata,"a",@progbits
	.p2align	6, 0x0
	.amdhsa_kernel _ZN4vllm29act_and_mul_kernel_with_paramIN3c104HalfETnPFT_RKS3_fEXadL_ZNS_14fatrelu_kernelIS2_EES3_S5_fEEEEvPS3_PS4_if
		.amdhsa_group_segment_fixed_size 0
		.amdhsa_private_segment_fixed_size 0
		.amdhsa_kernarg_size 280
		.amdhsa_user_sgpr_count 6
		.amdhsa_user_sgpr_private_segment_buffer 1
		.amdhsa_user_sgpr_dispatch_ptr 0
		.amdhsa_user_sgpr_queue_ptr 0
		.amdhsa_user_sgpr_kernarg_segment_ptr 1
		.amdhsa_user_sgpr_dispatch_id 0
		.amdhsa_user_sgpr_flat_scratch_init 0
		.amdhsa_user_sgpr_kernarg_preload_length 0
		.amdhsa_user_sgpr_kernarg_preload_offset 0
		.amdhsa_user_sgpr_private_segment_size 0
		.amdhsa_uses_dynamic_stack 0
		.amdhsa_system_sgpr_private_segment_wavefront_offset 0
		.amdhsa_system_sgpr_workgroup_id_x 1
		.amdhsa_system_sgpr_workgroup_id_y 0
		.amdhsa_system_sgpr_workgroup_id_z 0
		.amdhsa_system_sgpr_workgroup_info 0
		.amdhsa_system_vgpr_workitem_id 0
		.amdhsa_next_free_vgpr 26
		.amdhsa_next_free_sgpr 21
		.amdhsa_accum_offset 28
		.amdhsa_reserve_vcc 1
		.amdhsa_reserve_flat_scratch 0
		.amdhsa_float_round_mode_32 0
		.amdhsa_float_round_mode_16_64 0
		.amdhsa_float_denorm_mode_32 3
		.amdhsa_float_denorm_mode_16_64 3
		.amdhsa_dx10_clamp 1
		.amdhsa_ieee_mode 1
		.amdhsa_fp16_overflow 0
		.amdhsa_tg_split 0
		.amdhsa_exception_fp_ieee_invalid_op 0
		.amdhsa_exception_fp_denorm_src 0
		.amdhsa_exception_fp_ieee_div_zero 0
		.amdhsa_exception_fp_ieee_overflow 0
		.amdhsa_exception_fp_ieee_underflow 0
		.amdhsa_exception_fp_ieee_inexact 0
		.amdhsa_exception_int_div_zero 0
	.end_amdhsa_kernel
	.section	.text._ZN4vllm29act_and_mul_kernel_with_paramIN3c104HalfETnPFT_RKS3_fEXadL_ZNS_14fatrelu_kernelIS2_EES3_S5_fEEEEvPS3_PS4_if,"axG",@progbits,_ZN4vllm29act_and_mul_kernel_with_paramIN3c104HalfETnPFT_RKS3_fEXadL_ZNS_14fatrelu_kernelIS2_EES3_S5_fEEEEvPS3_PS4_if,comdat
.Lfunc_end13:
	.size	_ZN4vllm29act_and_mul_kernel_with_paramIN3c104HalfETnPFT_RKS3_fEXadL_ZNS_14fatrelu_kernelIS2_EES3_S5_fEEEEvPS3_PS4_if, .Lfunc_end13-_ZN4vllm29act_and_mul_kernel_with_paramIN3c104HalfETnPFT_RKS3_fEXadL_ZNS_14fatrelu_kernelIS2_EES3_S5_fEEEEvPS3_PS4_if
                                        ; -- End function
	.section	.AMDGPU.csdata,"",@progbits
; Kernel info:
; codeLenInByte = 1332
; NumSgprs: 25
; NumVgprs: 26
; NumAgprs: 0
; TotalNumVgprs: 26
; ScratchSize: 0
; MemoryBound: 0
; FloatMode: 240
; IeeeMode: 1
; LDSByteSize: 0 bytes/workgroup (compile time only)
; SGPRBlocks: 3
; VGPRBlocks: 3
; NumSGPRsForWavesPerEU: 25
; NumVGPRsForWavesPerEU: 26
; AccumOffset: 28
; Occupancy: 8
; WaveLimiterHint : 0
; COMPUTE_PGM_RSRC2:SCRATCH_EN: 0
; COMPUTE_PGM_RSRC2:USER_SGPR: 6
; COMPUTE_PGM_RSRC2:TRAP_HANDLER: 0
; COMPUTE_PGM_RSRC2:TGID_X_EN: 1
; COMPUTE_PGM_RSRC2:TGID_Y_EN: 0
; COMPUTE_PGM_RSRC2:TGID_Z_EN: 0
; COMPUTE_PGM_RSRC2:TIDIG_COMP_CNT: 0
; COMPUTE_PGM_RSRC3_GFX90A:ACCUM_OFFSET: 6
; COMPUTE_PGM_RSRC3_GFX90A:TG_SPLIT: 0
	.section	.text._ZN4vllm29act_and_mul_kernel_with_paramIN3c108BFloat16ETnPFT_RKS3_fEXadL_ZNS_14fatrelu_kernelIS2_EES3_S5_fEEEEvPS3_PS4_if,"axG",@progbits,_ZN4vllm29act_and_mul_kernel_with_paramIN3c108BFloat16ETnPFT_RKS3_fEXadL_ZNS_14fatrelu_kernelIS2_EES3_S5_fEEEEvPS3_PS4_if,comdat
	.protected	_ZN4vllm29act_and_mul_kernel_with_paramIN3c108BFloat16ETnPFT_RKS3_fEXadL_ZNS_14fatrelu_kernelIS2_EES3_S5_fEEEEvPS3_PS4_if ; -- Begin function _ZN4vllm29act_and_mul_kernel_with_paramIN3c108BFloat16ETnPFT_RKS3_fEXadL_ZNS_14fatrelu_kernelIS2_EES3_S5_fEEEEvPS3_PS4_if
	.globl	_ZN4vllm29act_and_mul_kernel_with_paramIN3c108BFloat16ETnPFT_RKS3_fEXadL_ZNS_14fatrelu_kernelIS2_EES3_S5_fEEEEvPS3_PS4_if
	.p2align	8
	.type	_ZN4vllm29act_and_mul_kernel_with_paramIN3c108BFloat16ETnPFT_RKS3_fEXadL_ZNS_14fatrelu_kernelIS2_EES3_S5_fEEEEvPS3_PS4_if,@function
_ZN4vllm29act_and_mul_kernel_with_paramIN3c108BFloat16ETnPFT_RKS3_fEXadL_ZNS_14fatrelu_kernelIS2_EES3_S5_fEEEEvPS3_PS4_if: ; @_ZN4vllm29act_and_mul_kernel_with_paramIN3c108BFloat16ETnPFT_RKS3_fEXadL_ZNS_14fatrelu_kernelIS2_EES3_S5_fEEEEvPS3_PS4_if
; %bb.0:
	s_load_dwordx2 s[12:13], s[4:5], 0x10
	s_waitcnt lgkmcnt(0)
	v_cmp_gt_i32_e32 vcc, s12, v0
	s_and_saveexec_b64 s[0:1], vcc
	s_cbranch_execz .LBB14_12
; %bb.1:
	s_load_dwordx4 s[8:11], s[4:5], 0x0
	s_load_dword s0, s[4:5], 0x24
	s_ashr_i32 s15, s12, 31
	s_mov_b32 s14, s12
	v_mov_b32_e32 v2, s15
	v_mov_b32_e32 v1, 0
	s_waitcnt lgkmcnt(0)
	s_and_b32 s12, s0, 0xffff
	v_add_co_u32_e32 v4, vcc, s12, v0
	v_addc_co_u32_e64 v5, s[0:1], 0, 0, vcc
	v_cmp_lt_i64_e32 vcc, s[14:15], v[4:5]
	v_cndmask_b32_e32 v6, v2, v5, vcc
	v_mov_b32_e32 v2, s14
	v_cndmask_b32_e32 v3, v2, v4, vcc
	v_cmp_gt_i64_e32 vcc, s[14:15], v[4:5]
	v_cndmask_b32_e64 v2, 0, 1, vcc
	v_add_co_u32_e32 v4, vcc, v4, v2
	v_addc_co_u32_e32 v5, vcc, 0, v5, vcc
	v_sub_co_u32_e32 v3, vcc, v3, v4
	v_subb_co_u32_e32 v5, vcc, v6, v5, vcc
	v_mov_b32_e32 v4, v1
	s_mov_b32 s16, 0
	v_cmp_ne_u64_e32 vcc, 0, v[4:5]
                                        ; implicit-def: $vgpr6_vgpr7
	s_and_saveexec_b64 s[0:1], vcc
	s_xor_b64 s[2:3], exec, s[0:1]
	s_cbranch_execz .LBB14_3
; %bb.2:
	v_cvt_f32_u32_e32 v4, s12
	v_mov_b32_e32 v6, 0x4f800000
	s_sub_u32 s0, 0, s12
	s_subb_u32 s1, 0, 0
	v_mac_f32_e32 v4, 0, v6
	v_rcp_f32_e32 v4, v4
	v_mul_f32_e32 v4, 0x5f7ffffc, v4
	v_mul_f32_e32 v6, 0x2f800000, v4
	v_trunc_f32_e32 v6, v6
	v_madmk_f32 v4, v6, 0xcf800000, v4
	v_cvt_u32_f32_e32 v6, v6
	v_cvt_u32_f32_e32 v4, v4
	v_mul_lo_u32 v7, s0, v6
	v_mul_hi_u32 v9, s0, v4
	v_mul_lo_u32 v8, s1, v4
	v_add_u32_e32 v7, v9, v7
	v_mul_lo_u32 v10, s0, v4
	v_add_u32_e32 v7, v7, v8
	v_mul_hi_u32 v9, v4, v10
	v_mul_lo_u32 v11, v4, v7
	v_mul_hi_u32 v8, v4, v7
	v_add_co_u32_e32 v9, vcc, v9, v11
	v_addc_co_u32_e32 v8, vcc, 0, v8, vcc
	v_mul_hi_u32 v12, v6, v10
	v_mul_lo_u32 v10, v6, v10
	v_add_co_u32_e32 v9, vcc, v9, v10
	v_mul_hi_u32 v11, v6, v7
	v_addc_co_u32_e32 v8, vcc, v8, v12, vcc
	v_addc_co_u32_e32 v9, vcc, 0, v11, vcc
	v_mul_lo_u32 v7, v6, v7
	v_add_co_u32_e32 v7, vcc, v8, v7
	v_addc_co_u32_e32 v8, vcc, 0, v9, vcc
	v_add_co_u32_e32 v4, vcc, v4, v7
	v_addc_co_u32_e32 v6, vcc, v6, v8, vcc
	v_mul_lo_u32 v7, s0, v6
	v_mul_hi_u32 v8, s0, v4
	v_add_u32_e32 v7, v8, v7
	v_mul_lo_u32 v8, s1, v4
	v_add_u32_e32 v7, v7, v8
	v_mul_lo_u32 v9, s0, v4
	v_mul_hi_u32 v10, v6, v9
	v_mul_lo_u32 v11, v6, v9
	v_mul_lo_u32 v13, v4, v7
	v_mul_hi_u32 v9, v4, v9
	v_mul_hi_u32 v12, v4, v7
	v_add_co_u32_e32 v9, vcc, v9, v13
	v_addc_co_u32_e32 v12, vcc, 0, v12, vcc
	v_add_co_u32_e32 v9, vcc, v9, v11
	v_mul_hi_u32 v8, v6, v7
	v_addc_co_u32_e32 v9, vcc, v12, v10, vcc
	v_addc_co_u32_e32 v8, vcc, 0, v8, vcc
	v_mul_lo_u32 v7, v6, v7
	v_add_co_u32_e32 v7, vcc, v9, v7
	v_addc_co_u32_e32 v8, vcc, 0, v8, vcc
	v_add_co_u32_e32 v4, vcc, v4, v7
	v_addc_co_u32_e32 v8, vcc, v6, v8, vcc
	v_mad_u64_u32 v[6:7], s[0:1], v3, v8, 0
	v_mul_hi_u32 v9, v3, v4
	v_add_co_u32_e32 v10, vcc, v9, v6
	v_addc_co_u32_e32 v11, vcc, 0, v7, vcc
	v_mad_u64_u32 v[6:7], s[0:1], v5, v8, 0
	v_mad_u64_u32 v[8:9], s[0:1], v5, v4, 0
	v_add_co_u32_e32 v4, vcc, v10, v8
	v_addc_co_u32_e32 v4, vcc, v11, v9, vcc
	v_addc_co_u32_e32 v7, vcc, 0, v7, vcc
	v_add_co_u32_e32 v10, vcc, v4, v6
	v_addc_co_u32_e32 v11, vcc, 0, v7, vcc
	v_mad_u64_u32 v[6:7], s[0:1], s12, v10, 0
	v_mov_b32_e32 v4, v7
	v_mad_u64_u32 v[8:9], s[0:1], s12, v11, v[4:5]
	v_sub_co_u32_e32 v3, vcc, v3, v6
	v_subb_co_u32_e32 v4, vcc, v5, v8, vcc
	v_subrev_co_u32_e32 v5, vcc, s12, v3
	v_subbrev_co_u32_e32 v6, vcc, 0, v4, vcc
	v_cmp_le_u32_e32 vcc, s12, v5
	v_cndmask_b32_e64 v5, 0, -1, vcc
	v_cmp_eq_u32_e32 vcc, 0, v6
	v_cndmask_b32_e32 v5, -1, v5, vcc
	v_add_co_u32_e32 v6, vcc, 2, v10
	v_addc_co_u32_e32 v7, vcc, 0, v11, vcc
	v_add_co_u32_e32 v8, vcc, 1, v10
	v_cmp_le_u32_e64 s[0:1], s12, v3
	v_addc_co_u32_e32 v9, vcc, 0, v11, vcc
	v_cndmask_b32_e64 v3, 0, -1, s[0:1]
	v_cmp_eq_u32_e64 s[0:1], 0, v4
	v_cmp_ne_u32_e32 vcc, 0, v5
	v_cndmask_b32_e64 v3, -1, v3, s[0:1]
	v_cndmask_b32_e32 v5, v9, v7, vcc
	v_cmp_ne_u32_e64 s[0:1], 0, v3
	v_cndmask_b32_e32 v3, v8, v6, vcc
	v_cndmask_b32_e64 v7, v11, v5, s[0:1]
	v_cndmask_b32_e64 v6, v10, v3, s[0:1]
                                        ; implicit-def: $vgpr3
.LBB14_3:
	s_andn2_saveexec_b64 s[0:1], s[2:3]
	s_cbranch_execz .LBB14_5
; %bb.4:
	v_cvt_f32_u32_e32 v4, s12
	s_sub_i32 s2, 0, s12
	v_mov_b32_e32 v7, 0
	v_rcp_iflag_f32_e32 v4, v4
	v_mul_f32_e32 v4, 0x4f7ffffe, v4
	v_cvt_u32_f32_e32 v4, v4
	v_mul_lo_u32 v5, s2, v4
	v_mul_hi_u32 v5, v4, v5
	v_add_u32_e32 v4, v4, v5
	v_mul_hi_u32 v4, v3, v4
	v_mul_lo_u32 v5, v4, s12
	v_sub_u32_e32 v3, v3, v5
	v_add_u32_e32 v6, 1, v4
	v_subrev_u32_e32 v5, s12, v3
	v_cmp_le_u32_e32 vcc, s12, v3
	v_cndmask_b32_e32 v3, v3, v5, vcc
	v_cndmask_b32_e32 v4, v4, v6, vcc
	v_add_u32_e32 v5, 1, v4
	v_cmp_le_u32_e32 vcc, s12, v3
	v_cndmask_b32_e32 v6, v4, v5, vcc
.LBB14_5:
	s_or_b64 exec, exec, s[0:1]
	s_mul_i32 s0, s6, s15
	s_mul_hi_u32 s1, s6, s14
	s_add_i32 s1, s1, s0
	s_mul_i32 s0, s6, s14
	s_lshl_b64 s[2:3], s[0:1], 2
	s_add_u32 s10, s10, s2
	s_addc_u32 s18, s11, s3
	s_lshl_b64 s[2:3], s[14:15], 1
	v_add_co_u32_e32 v2, vcc, v6, v2
	s_add_u32 s11, s10, s2
	v_addc_co_u32_e32 v3, vcc, 0, v7, vcc
	s_addc_u32 s20, s18, s3
	s_lshl_b64 s[0:1], s[0:1], 1
	v_add_co_u32_e32 v2, vcc, 1, v2
	s_add_u32 s17, s8, s0
	v_addc_co_u32_e32 v3, vcc, 0, v3, vcc
	s_addc_u32 s19, s9, s1
	v_cmp_lt_u64_e32 vcc, 3, v[2:3]
	v_cmp_eq_u16_e64 s[0:1], s12, 1
	s_and_b64 s[2:3], vcc, s[0:1]
	s_mov_b64 s[0:1], -1
	s_and_saveexec_b64 s[6:7], s[2:3]
	s_cbranch_execz .LBB14_9
; %bb.6:
	v_and_b32_e32 v4, -4, v2
	v_mov_b32_e32 v5, v3
	s_mov_b32 s0, 0
	s_mov_b32 s21, s13
	;; [unrolled: 1-line block ×4, first 2 shown]
	v_lshlrev_b32_e32 v6, 1, v0
	v_mov_b32_e32 v7, 0
	s_lshl_b32 s24, s12, 3
	s_mov_b64 s[8:9], 0
	v_mov_b32_e32 v10, s18
	v_mov_b32_e32 v11, s20
	s_movk_i32 s25, 0x7fff
	v_mov_b32_e32 v12, 0x7fc00000
	v_mov_b32_e32 v13, 0x7fc0
	s_mov_b32 s26, 0x5040100
	v_mov_b32_e32 v14, s19
	v_mov_b32_e32 v15, s0
	v_pk_mov_b32 v[8:9], v[4:5], v[4:5] op_sel:[0,1]
.LBB14_7:                               ; =>This Inner Loop Header: Depth=1
	v_add_co_u32_e32 v16, vcc, s10, v6
	v_addc_co_u32_e32 v17, vcc, v10, v7, vcc
	v_add_co_u32_e32 v18, vcc, s11, v6
	v_addc_co_u32_e32 v19, vcc, v11, v7, vcc
	global_load_dwordx2 v[20:21], v[16:17], off
	global_load_dwordx2 v[22:23], v[18:19], off
	v_add_co_u32_e32 v16, vcc, s17, v6
	v_addc_co_u32_e32 v17, vcc, v14, v7, vcc
	v_add_co_u32_e32 v8, vcc, -4, v8
	v_addc_co_u32_e32 v9, vcc, -1, v9, vcc
	v_add_co_u32_e32 v6, vcc, s24, v6
	v_addc_co_u32_e32 v7, vcc, v7, v15, vcc
	v_cmp_eq_u64_e32 vcc, 0, v[8:9]
	s_or_b64 s[8:9], vcc, s[8:9]
	s_waitcnt vmcnt(1)
	v_lshlrev_b32_e32 v24, 16, v20
	v_and_b32_e32 v25, 0xffff0000, v20
	v_cmp_lt_f32_e32 vcc, s21, v24
	v_lshlrev_b32_e32 v26, 16, v21
	v_and_b32_e32 v27, 0xffff0000, v21
	s_waitcnt vmcnt(0)
	v_and_b32_e32 v21, 0xffff0000, v22
	v_lshlrev_b32_e32 v20, 16, v22
	v_cndmask_b32_e32 v22, 0, v24, vcc
	v_cmp_lt_f32_e32 vcc, s13, v25
	v_and_b32_e32 v19, 0xffff0000, v23
	v_lshlrev_b32_e32 v18, 16, v23
	v_cndmask_b32_e32 v23, 0, v25, vcc
	v_cmp_lt_f32_e32 vcc, s22, v26
	v_cndmask_b32_e32 v24, 0, v26, vcc
	v_cmp_lt_f32_e32 vcc, s23, v27
	v_cndmask_b32_e32 v25, 0, v27, vcc
	v_lshrrev_b32_e32 v26, 16, v25
	v_lshrrev_b32_e32 v27, 16, v24
	;; [unrolled: 1-line block ×4, first 2 shown]
	v_and_or_b32 v29, v29, 1, v22
	v_and_or_b32 v28, v28, 1, v23
	;; [unrolled: 1-line block ×4, first 2 shown]
	v_add_u32_e32 v26, 0x7fff, v26
	v_add_u32_e32 v27, 0x7fff, v27
	;; [unrolled: 1-line block ×4, first 2 shown]
	v_and_b32_e32 v29, 0xffff0000, v29
	v_and_b32_e32 v28, 0xffff0000, v28
	;; [unrolled: 1-line block ×4, first 2 shown]
	v_cmp_o_f32_e32 vcc, v24, v24
	v_cmp_o_f32_e64 s[0:1], v23, v23
	v_cmp_o_f32_e64 s[2:3], v22, v22
	;; [unrolled: 1-line block ×3, first 2 shown]
	v_cndmask_b32_e64 v23, v12, v26, s[4:5]
	v_cndmask_b32_e32 v22, v12, v27, vcc
	v_cndmask_b32_e64 v25, v12, v28, s[0:1]
	v_cndmask_b32_e64 v24, v12, v29, s[2:3]
	v_pk_mul_f32 v[20:21], v[24:25], v[20:21]
	v_pk_mul_f32 v[18:19], v[22:23], v[18:19]
	v_bfe_u32 v22, v20, 16, 1
	v_bfe_u32 v23, v21, 16, 1
	;; [unrolled: 1-line block ×4, first 2 shown]
	v_add3_u32 v25, v19, v25, s25
	v_add3_u32 v24, v18, v24, s25
	;; [unrolled: 1-line block ×4, first 2 shown]
	v_lshrrev_b32_e32 v22, 16, v22
	v_lshrrev_b32_e32 v23, 16, v23
	;; [unrolled: 1-line block ×4, first 2 shown]
	v_cmp_o_f32_e32 vcc, v21, v21
	v_cmp_o_f32_e64 s[0:1], v18, v18
	v_cmp_o_f32_e64 s[2:3], v19, v19
	;; [unrolled: 1-line block ×3, first 2 shown]
	v_cndmask_b32_e64 v18, v13, v22, s[4:5]
	v_cndmask_b32_e32 v19, v13, v23, vcc
	v_cndmask_b32_e64 v20, v13, v24, s[0:1]
	v_cndmask_b32_e64 v21, v13, v25, s[2:3]
	v_perm_b32 v18, v19, v18, s26
	v_perm_b32 v19, v21, v20, s26
	global_store_dwordx2 v[16:17], v[18:19], off
	s_andn2_b64 exec, exec, s[8:9]
	s_cbranch_execnz .LBB14_7
; %bb.8:
	s_or_b64 exec, exec, s[8:9]
	v_mad_u64_u32 v[0:1], s[0:1], v4, s12, v[0:1]
	v_mov_b32_e32 v6, v1
	v_mad_u64_u32 v[6:7], s[0:1], v5, s12, v[6:7]
	v_cmp_ne_u64_e32 vcc, v[2:3], v[4:5]
	v_mov_b32_e32 v1, v6
	s_orn2_b64 s[0:1], vcc, exec
.LBB14_9:
	s_or_b64 exec, exec, s[6:7]
	s_and_b64 exec, exec, s[0:1]
	s_cbranch_execz .LBB14_12
; %bb.10:
	s_mov_b32 s4, 0
	v_lshlrev_b64 v[2:3], 1, v[0:1]
	s_lshl_b32 s2, s12, 1
	s_mov_b64 s[0:1], 0
	v_mov_b32_e32 v4, s18
	v_mov_b32_e32 v5, s20
	s_movk_i32 s3, 0x7fff
	v_mov_b32_e32 v6, 0x7fc00000
	v_mov_b32_e32 v7, 0x7fc0
	;; [unrolled: 1-line block ×5, first 2 shown]
.LBB14_11:                              ; =>This Inner Loop Header: Depth=1
	v_add_co_u32_e32 v12, vcc, s10, v2
	v_addc_co_u32_e32 v13, vcc, v4, v3, vcc
	v_add_co_u32_e32 v14, vcc, s11, v2
	v_addc_co_u32_e32 v15, vcc, v5, v3, vcc
	global_load_ushort v11, v[12:13], off
	global_load_ushort v16, v[14:15], off
	v_add_co_u32_e32 v12, vcc, s17, v2
	v_addc_co_u32_e32 v13, vcc, v8, v3, vcc
	v_add_co_u32_e32 v0, vcc, s12, v0
	v_addc_co_u32_e32 v1, vcc, v1, v9, vcc
	;; [unrolled: 2-line block ×3, first 2 shown]
	v_cmp_le_i64_e32 vcc, s[14:15], v[0:1]
	s_or_b64 s[0:1], vcc, s[0:1]
	s_waitcnt vmcnt(1)
	v_lshlrev_b32_e32 v11, 16, v11
	v_cmp_lt_f32_e32 vcc, s13, v11
	v_cndmask_b32_e32 v11, 0, v11, vcc
	v_lshrrev_b32_e32 v15, 16, v11
	v_and_or_b32 v15, v15, 1, v11
	v_add_u32_e32 v15, 0x7fff, v15
	v_and_b32_e32 v15, 0xffff0000, v15
	v_cmp_o_f32_e32 vcc, v11, v11
	s_waitcnt vmcnt(0)
	v_lshlrev_b32_e32 v14, 16, v16
	v_cndmask_b32_e32 v11, v6, v15, vcc
	v_mul_f32_e32 v11, v11, v14
	v_bfe_u32 v14, v11, 16, 1
	v_add3_u32 v14, v11, v14, s3
	v_lshrrev_b32_e32 v14, 16, v14
	v_cmp_o_f32_e32 vcc, v11, v11
	v_cndmask_b32_e32 v11, v7, v14, vcc
	global_store_short v[12:13], v11, off
	s_andn2_b64 exec, exec, s[0:1]
	s_cbranch_execnz .LBB14_11
.LBB14_12:
	s_endpgm
	.section	.rodata,"a",@progbits
	.p2align	6, 0x0
	.amdhsa_kernel _ZN4vllm29act_and_mul_kernel_with_paramIN3c108BFloat16ETnPFT_RKS3_fEXadL_ZNS_14fatrelu_kernelIS2_EES3_S5_fEEEEvPS3_PS4_if
		.amdhsa_group_segment_fixed_size 0
		.amdhsa_private_segment_fixed_size 0
		.amdhsa_kernarg_size 280
		.amdhsa_user_sgpr_count 6
		.amdhsa_user_sgpr_private_segment_buffer 1
		.amdhsa_user_sgpr_dispatch_ptr 0
		.amdhsa_user_sgpr_queue_ptr 0
		.amdhsa_user_sgpr_kernarg_segment_ptr 1
		.amdhsa_user_sgpr_dispatch_id 0
		.amdhsa_user_sgpr_flat_scratch_init 0
		.amdhsa_user_sgpr_kernarg_preload_length 0
		.amdhsa_user_sgpr_kernarg_preload_offset 0
		.amdhsa_user_sgpr_private_segment_size 0
		.amdhsa_uses_dynamic_stack 0
		.amdhsa_system_sgpr_private_segment_wavefront_offset 0
		.amdhsa_system_sgpr_workgroup_id_x 1
		.amdhsa_system_sgpr_workgroup_id_y 0
		.amdhsa_system_sgpr_workgroup_id_z 0
		.amdhsa_system_sgpr_workgroup_info 0
		.amdhsa_system_vgpr_workitem_id 0
		.amdhsa_next_free_vgpr 30
		.amdhsa_next_free_sgpr 27
		.amdhsa_accum_offset 32
		.amdhsa_reserve_vcc 1
		.amdhsa_reserve_flat_scratch 0
		.amdhsa_float_round_mode_32 0
		.amdhsa_float_round_mode_16_64 0
		.amdhsa_float_denorm_mode_32 3
		.amdhsa_float_denorm_mode_16_64 3
		.amdhsa_dx10_clamp 1
		.amdhsa_ieee_mode 1
		.amdhsa_fp16_overflow 0
		.amdhsa_tg_split 0
		.amdhsa_exception_fp_ieee_invalid_op 0
		.amdhsa_exception_fp_denorm_src 0
		.amdhsa_exception_fp_ieee_div_zero 0
		.amdhsa_exception_fp_ieee_overflow 0
		.amdhsa_exception_fp_ieee_underflow 0
		.amdhsa_exception_fp_ieee_inexact 0
		.amdhsa_exception_int_div_zero 0
	.end_amdhsa_kernel
	.section	.text._ZN4vllm29act_and_mul_kernel_with_paramIN3c108BFloat16ETnPFT_RKS3_fEXadL_ZNS_14fatrelu_kernelIS2_EES3_S5_fEEEEvPS3_PS4_if,"axG",@progbits,_ZN4vllm29act_and_mul_kernel_with_paramIN3c108BFloat16ETnPFT_RKS3_fEXadL_ZNS_14fatrelu_kernelIS2_EES3_S5_fEEEEvPS3_PS4_if,comdat
.Lfunc_end14:
	.size	_ZN4vllm29act_and_mul_kernel_with_paramIN3c108BFloat16ETnPFT_RKS3_fEXadL_ZNS_14fatrelu_kernelIS2_EES3_S5_fEEEEvPS3_PS4_if, .Lfunc_end14-_ZN4vllm29act_and_mul_kernel_with_paramIN3c108BFloat16ETnPFT_RKS3_fEXadL_ZNS_14fatrelu_kernelIS2_EES3_S5_fEEEEvPS3_PS4_if
                                        ; -- End function
	.section	.AMDGPU.csdata,"",@progbits
; Kernel info:
; codeLenInByte = 1768
; NumSgprs: 31
; NumVgprs: 30
; NumAgprs: 0
; TotalNumVgprs: 30
; ScratchSize: 0
; MemoryBound: 0
; FloatMode: 240
; IeeeMode: 1
; LDSByteSize: 0 bytes/workgroup (compile time only)
; SGPRBlocks: 3
; VGPRBlocks: 3
; NumSGPRsForWavesPerEU: 31
; NumVGPRsForWavesPerEU: 30
; AccumOffset: 32
; Occupancy: 8
; WaveLimiterHint : 0
; COMPUTE_PGM_RSRC2:SCRATCH_EN: 0
; COMPUTE_PGM_RSRC2:USER_SGPR: 6
; COMPUTE_PGM_RSRC2:TRAP_HANDLER: 0
; COMPUTE_PGM_RSRC2:TGID_X_EN: 1
; COMPUTE_PGM_RSRC2:TGID_Y_EN: 0
; COMPUTE_PGM_RSRC2:TGID_Z_EN: 0
; COMPUTE_PGM_RSRC2:TIDIG_COMP_CNT: 0
; COMPUTE_PGM_RSRC3_GFX90A:ACCUM_OFFSET: 7
; COMPUTE_PGM_RSRC3_GFX90A:TG_SPLIT: 0
	.section	.text._ZN4vllm24swigluoai_and_mul_kernelIfTnPFT_RKS1_S3_ffEXadL_ZNS_17swigluoai_and_mulIfEES1_S3_S3_ffEEEEvPS1_PS2_iff,"axG",@progbits,_ZN4vllm24swigluoai_and_mul_kernelIfTnPFT_RKS1_S3_ffEXadL_ZNS_17swigluoai_and_mulIfEES1_S3_S3_ffEEEEvPS1_PS2_iff,comdat
	.protected	_ZN4vllm24swigluoai_and_mul_kernelIfTnPFT_RKS1_S3_ffEXadL_ZNS_17swigluoai_and_mulIfEES1_S3_S3_ffEEEEvPS1_PS2_iff ; -- Begin function _ZN4vllm24swigluoai_and_mul_kernelIfTnPFT_RKS1_S3_ffEXadL_ZNS_17swigluoai_and_mulIfEES1_S3_S3_ffEEEEvPS1_PS2_iff
	.globl	_ZN4vllm24swigluoai_and_mul_kernelIfTnPFT_RKS1_S3_ffEXadL_ZNS_17swigluoai_and_mulIfEES1_S3_S3_ffEEEEvPS1_PS2_iff
	.p2align	8
	.type	_ZN4vllm24swigluoai_and_mul_kernelIfTnPFT_RKS1_S3_ffEXadL_ZNS_17swigluoai_and_mulIfEES1_S3_S3_ffEEEEvPS1_PS2_iff,@function
_ZN4vllm24swigluoai_and_mul_kernelIfTnPFT_RKS1_S3_ffEXadL_ZNS_17swigluoai_and_mulIfEES1_S3_S3_ffEEEEvPS1_PS2_iff: ; @_ZN4vllm24swigluoai_and_mul_kernelIfTnPFT_RKS1_S3_ffEXadL_ZNS_17swigluoai_and_mulIfEES1_S3_S3_ffEEEEvPS1_PS2_iff
; %bb.0:
	s_load_dwordx4 s[8:11], s[4:5], 0x10
	s_waitcnt lgkmcnt(0)
	v_cmp_gt_i32_e32 vcc, s8, v0
	s_and_saveexec_b64 s[0:1], vcc
	s_cbranch_execz .LBB15_14
; %bb.1:
	s_load_dword s0, s[4:5], 0x2c
	s_mov_b32 s2, s8
	s_ashr_i32 s3, s8, 31
	v_mov_b32_e32 v2, s3
	v_mov_b32_e32 v1, 0
	s_waitcnt lgkmcnt(0)
	s_and_b32 s11, s0, 0xffff
	v_add_co_u32_e32 v4, vcc, s11, v0
	v_addc_co_u32_e64 v5, s[0:1], 0, 0, vcc
	v_cmp_lt_i64_e32 vcc, s[2:3], v[4:5]
	v_cndmask_b32_e32 v6, v2, v5, vcc
	v_mov_b32_e32 v2, s8
	v_cndmask_b32_e32 v3, v2, v4, vcc
	v_cmp_gt_i64_e32 vcc, s[2:3], v[4:5]
	v_cndmask_b32_e64 v2, 0, 1, vcc
	v_add_co_u32_e32 v4, vcc, v4, v2
	v_addc_co_u32_e32 v5, vcc, 0, v5, vcc
	v_sub_co_u32_e32 v3, vcc, v3, v4
	v_subb_co_u32_e32 v5, vcc, v6, v5, vcc
	v_mov_b32_e32 v4, v1
	s_mov_b32 s22, 0
	v_cmp_ne_u64_e32 vcc, 0, v[4:5]
                                        ; implicit-def: $vgpr6_vgpr7
	s_and_saveexec_b64 s[0:1], vcc
	s_xor_b64 s[12:13], exec, s[0:1]
	s_cbranch_execz .LBB15_3
; %bb.2:
	v_cvt_f32_u32_e32 v4, s11
	v_mov_b32_e32 v6, 0x4f800000
	s_sub_u32 s0, 0, s11
	s_subb_u32 s1, 0, 0
	v_mac_f32_e32 v4, 0, v6
	v_rcp_f32_e32 v4, v4
	v_mul_f32_e32 v4, 0x5f7ffffc, v4
	v_mul_f32_e32 v6, 0x2f800000, v4
	v_trunc_f32_e32 v6, v6
	v_madmk_f32 v4, v6, 0xcf800000, v4
	v_cvt_u32_f32_e32 v6, v6
	v_cvt_u32_f32_e32 v4, v4
	v_mul_lo_u32 v7, s0, v6
	v_mul_hi_u32 v9, s0, v4
	v_mul_lo_u32 v8, s1, v4
	v_add_u32_e32 v7, v9, v7
	v_mul_lo_u32 v10, s0, v4
	v_add_u32_e32 v7, v7, v8
	v_mul_hi_u32 v9, v4, v10
	v_mul_lo_u32 v11, v4, v7
	v_mul_hi_u32 v8, v4, v7
	v_add_co_u32_e32 v9, vcc, v9, v11
	v_addc_co_u32_e32 v8, vcc, 0, v8, vcc
	v_mul_hi_u32 v12, v6, v10
	v_mul_lo_u32 v10, v6, v10
	v_add_co_u32_e32 v9, vcc, v9, v10
	v_mul_hi_u32 v11, v6, v7
	v_addc_co_u32_e32 v8, vcc, v8, v12, vcc
	v_addc_co_u32_e32 v9, vcc, 0, v11, vcc
	v_mul_lo_u32 v7, v6, v7
	v_add_co_u32_e32 v7, vcc, v8, v7
	v_addc_co_u32_e32 v8, vcc, 0, v9, vcc
	v_add_co_u32_e32 v4, vcc, v4, v7
	v_addc_co_u32_e32 v6, vcc, v6, v8, vcc
	v_mul_lo_u32 v7, s0, v6
	v_mul_hi_u32 v8, s0, v4
	v_add_u32_e32 v7, v8, v7
	v_mul_lo_u32 v8, s1, v4
	v_add_u32_e32 v7, v7, v8
	v_mul_lo_u32 v9, s0, v4
	v_mul_hi_u32 v10, v6, v9
	v_mul_lo_u32 v11, v6, v9
	v_mul_lo_u32 v13, v4, v7
	v_mul_hi_u32 v9, v4, v9
	v_mul_hi_u32 v12, v4, v7
	v_add_co_u32_e32 v9, vcc, v9, v13
	v_addc_co_u32_e32 v12, vcc, 0, v12, vcc
	v_add_co_u32_e32 v9, vcc, v9, v11
	v_mul_hi_u32 v8, v6, v7
	v_addc_co_u32_e32 v9, vcc, v12, v10, vcc
	v_addc_co_u32_e32 v8, vcc, 0, v8, vcc
	v_mul_lo_u32 v7, v6, v7
	v_add_co_u32_e32 v7, vcc, v9, v7
	v_addc_co_u32_e32 v8, vcc, 0, v8, vcc
	v_add_co_u32_e32 v4, vcc, v4, v7
	v_addc_co_u32_e32 v8, vcc, v6, v8, vcc
	v_mad_u64_u32 v[6:7], s[0:1], v3, v8, 0
	v_mul_hi_u32 v9, v3, v4
	v_add_co_u32_e32 v10, vcc, v9, v6
	v_addc_co_u32_e32 v11, vcc, 0, v7, vcc
	v_mad_u64_u32 v[6:7], s[0:1], v5, v8, 0
	v_mad_u64_u32 v[8:9], s[0:1], v5, v4, 0
	v_add_co_u32_e32 v4, vcc, v10, v8
	v_addc_co_u32_e32 v4, vcc, v11, v9, vcc
	v_addc_co_u32_e32 v7, vcc, 0, v7, vcc
	v_add_co_u32_e32 v10, vcc, v4, v6
	v_addc_co_u32_e32 v11, vcc, 0, v7, vcc
	v_mad_u64_u32 v[6:7], s[0:1], s11, v10, 0
	v_mov_b32_e32 v4, v7
	v_mad_u64_u32 v[8:9], s[0:1], s11, v11, v[4:5]
	v_sub_co_u32_e32 v3, vcc, v3, v6
	v_subb_co_u32_e32 v4, vcc, v5, v8, vcc
	v_subrev_co_u32_e32 v5, vcc, s11, v3
	v_subbrev_co_u32_e32 v6, vcc, 0, v4, vcc
	v_cmp_le_u32_e32 vcc, s11, v5
	v_cndmask_b32_e64 v5, 0, -1, vcc
	v_cmp_eq_u32_e32 vcc, 0, v6
	v_cndmask_b32_e32 v5, -1, v5, vcc
	v_add_co_u32_e32 v6, vcc, 2, v10
	v_addc_co_u32_e32 v7, vcc, 0, v11, vcc
	v_add_co_u32_e32 v8, vcc, 1, v10
	v_cmp_le_u32_e64 s[0:1], s11, v3
	v_addc_co_u32_e32 v9, vcc, 0, v11, vcc
	v_cndmask_b32_e64 v3, 0, -1, s[0:1]
	v_cmp_eq_u32_e64 s[0:1], 0, v4
	v_cmp_ne_u32_e32 vcc, 0, v5
	v_cndmask_b32_e64 v3, -1, v3, s[0:1]
	v_cndmask_b32_e32 v5, v9, v7, vcc
	v_cmp_ne_u32_e64 s[0:1], 0, v3
	v_cndmask_b32_e32 v3, v8, v6, vcc
	v_cndmask_b32_e64 v7, v11, v5, s[0:1]
	v_cndmask_b32_e64 v6, v10, v3, s[0:1]
                                        ; implicit-def: $vgpr3
.LBB15_3:
	s_andn2_saveexec_b64 s[0:1], s[12:13]
	s_cbranch_execz .LBB15_5
; %bb.4:
	v_cvt_f32_u32_e32 v4, s11
	s_sub_i32 s7, 0, s11
	v_mov_b32_e32 v7, 0
	v_rcp_iflag_f32_e32 v4, v4
	v_mul_f32_e32 v4, 0x4f7ffffe, v4
	v_cvt_u32_f32_e32 v4, v4
	v_mul_lo_u32 v5, s7, v4
	v_mul_hi_u32 v5, v4, v5
	v_add_u32_e32 v4, v4, v5
	v_mul_hi_u32 v4, v3, v4
	v_mul_lo_u32 v5, v4, s11
	v_sub_u32_e32 v3, v3, v5
	v_add_u32_e32 v6, 1, v4
	v_subrev_u32_e32 v5, s11, v3
	v_cmp_le_u32_e32 vcc, s11, v3
	v_cndmask_b32_e32 v3, v3, v5, vcc
	v_cndmask_b32_e32 v4, v4, v6, vcc
	v_add_u32_e32 v5, 1, v4
	v_cmp_le_u32_e32 vcc, s11, v3
	v_cndmask_b32_e32 v6, v4, v5, vcc
.LBB15_5:
	s_or_b64 exec, exec, s[0:1]
	v_add_co_u32_e32 v2, vcc, v6, v2
	s_load_dwordx4 s[12:15], s[4:5], 0x0
	v_addc_co_u32_e32 v3, vcc, 0, v7, vcc
	v_add_co_u32_e32 v6, vcc, 1, v2
	s_mul_i32 s0, s6, s3
	s_mul_hi_u32 s1, s6, s2
	v_addc_co_u32_e32 v7, vcc, 0, v3, vcc
	s_add_i32 s5, s1, s0
	v_cmp_gt_u64_e32 vcc, 2, v[6:7]
	v_cmp_ne_u16_e64 s[0:1], s11, 1
	s_mul_i32 s4, s6, s2
	s_or_b64 s[16:17], vcc, s[0:1]
	s_mov_b64 s[6:7], 0
	v_mov_b32_e32 v9, v7
                                        ; kill: def $vgpr2_vgpr3 killed $sgpr0_sgpr1 killed $exec
                                        ; implicit-def: $sgpr0_sgpr1
	s_and_saveexec_b64 s[18:19], s[16:17]
	s_xor_b64 s[16:17], exec, s[18:19]
	s_cbranch_execnz .LBB15_8
; %bb.6:
	s_or_saveexec_b64 s[16:17], s[16:17]
	v_pk_mov_b32 v[2:3], s[0:1], s[0:1] op_sel:[0,1]
	s_xor_b64 exec, exec, s[16:17]
	s_cbranch_execnz .LBB15_9
.LBB15_7:
	s_or_b64 exec, exec, s[16:17]
	s_and_b64 exec, exec, s[6:7]
	s_cbranch_execnz .LBB15_12
	s_branch .LBB15_14
.LBB15_8:
	s_mov_b64 s[6:7], exec
	s_lshl_b32 s0, s11, 3
	s_mov_b32 s1, 0
                                        ; implicit-def: $vgpr6_vgpr7
                                        ; implicit-def: $vgpr9
	s_or_saveexec_b64 s[16:17], s[16:17]
	v_pk_mov_b32 v[2:3], s[0:1], s[0:1] op_sel:[0,1]
	s_xor_b64 exec, exec, s[16:17]
	s_cbranch_execz .LBB15_7
.LBB15_9:
	s_lshl_b64 s[0:1], s[4:5], 2
	s_waitcnt lgkmcnt(0)
	s_add_u32 s0, s12, s0
	v_mov_b32_e32 v3, s22
	v_add_co_u32_e32 v2, vcc, s11, v0
	s_addc_u32 s1, s13, s1
	v_addc_co_u32_e32 v3, vcc, 0, v3, vcc
	v_lshlrev_b32_e32 v4, 2, v0
	v_mov_b32_e32 v5, s1
	v_add_co_u32_e32 v10, vcc, s0, v4
	v_and_b32_e32 v8, -2, v6
	s_xor_b32 s25, s10, 0x80000000
	s_mov_b32 s19, 0
	v_addc_co_u32_e32 v11, vcc, 0, v5, vcc
	v_pk_mov_b32 v[4:5], v[2:3], v[2:3] op_sel:[0,1]
	s_mov_b32 s23, s4
	s_mov_b32 s24, s10
	;; [unrolled: 1-line block ×4, first 2 shown]
	s_lshl_b32 s18, s11, 3
	s_mov_b64 s[20:21], 0
	v_mov_b32_e32 v18, s5
	v_mov_b32_e32 v19, s5
	;; [unrolled: 1-line block ×7, first 2 shown]
	s_mov_b32 s27, 0x3fb8aa3b
	s_mov_b32 s28, 0xc2ce8ed0
	;; [unrolled: 1-line block ×3, first 2 shown]
	v_mov_b32_e32 v25, 0x7f800000
	v_mov_b32_e32 v26, s19
	v_pk_mov_b32 v[12:13], v[8:9], v[8:9] op_sel:[0,1]
	v_pk_mov_b32 v[2:3], v[0:1], v[0:1] op_sel:[0,1]
.LBB15_10:                              ; =>This Inner Loop Header: Depth=1
	v_add_co_u32_e32 v14, vcc, s23, v4
	v_addc_co_u32_e32 v15, vcc, v5, v18, vcc
	v_add_co_u32_e32 v16, vcc, s4, v2
	v_addc_co_u32_e32 v17, vcc, v3, v19, vcc
	v_lshlrev_b64 v[28:29], 1, v[16:17]
	v_lshlrev_b64 v[16:17], 3, v[16:17]
	v_add_co_u32_e64 v16, s[0:1], s14, v16
	v_lshlrev_b64 v[30:31], 1, v[14:15]
	v_lshlrev_b64 v[14:15], 3, v[14:15]
	v_addc_co_u32_e64 v17, s[0:1], v20, v17, s[0:1]
	v_add_co_u32_e64 v14, s[0:1], s14, v14
	v_addc_co_u32_e64 v15, s[0:1], v20, v15, s[0:1]
	v_or_b32_e32 v28, 1, v28
	global_load_dword v27, v[16:17], off
	global_load_dword v32, v[14:15], off
	v_lshlrev_b64 v[14:15], 2, v[28:29]
	v_or_b32_e32 v30, 1, v30
	v_add_co_u32_e64 v14, s[0:1], s14, v14
	v_lshlrev_b64 v[16:17], 2, v[30:31]
	v_addc_co_u32_e64 v15, s[0:1], v20, v15, s[0:1]
	v_add_co_u32_e64 v16, s[0:1], s14, v16
	v_addc_co_u32_e64 v17, s[0:1], v20, v17, s[0:1]
	global_load_dword v28, v[14:15], off
	global_load_dword v29, v[16:17], off
	v_add_co_u32_e32 v4, vcc, 2, v4
	v_addc_co_u32_e32 v5, vcc, 0, v5, vcc
	v_add_co_u32_e32 v2, vcc, 2, v2
	v_addc_co_u32_e32 v3, vcc, 0, v3, vcc
	v_add_co_u32_e32 v12, vcc, -2, v12
	v_addc_co_u32_e32 v13, vcc, -1, v13, vcc
	v_cmp_eq_u64_e32 vcc, 0, v[12:13]
	s_or_b64 s[20:21], vcc, s[20:21]
	s_waitcnt vmcnt(2)
	v_cmp_lt_f32_e32 vcc, s24, v32
	v_cndmask_b32_e32 v15, v32, v23, vcc
	v_cmp_lt_f32_e32 vcc, s10, v27
	v_cndmask_b32_e32 v14, v27, v24, vcc
	v_pk_mul_f32 v[16:17], s[8:9], v[14:15] neg_lo:[0,1] neg_hi:[0,1]
	v_mul_f32_e32 v30, 0x3fb8aa3b, v17
	v_mul_f32_e32 v31, 0x3fb8aa3b, v16
	v_rndne_f32_e32 v32, v30
	v_fma_f32 v33, v16, s27, -v31
	v_rndne_f32_e32 v34, v31
	v_fmac_f32_e32 v33, 0x32a5705f, v16
	s_waitcnt vmcnt(1)
	v_cmp_gt_f32_e32 vcc, s25, v28
	s_waitcnt vmcnt(0)
	v_cmp_gt_f32_e64 s[0:1], s26, v29
	v_cndmask_b32_e32 v27, v28, v21, vcc
	v_cmp_lt_f32_e32 vcc, s10, v28
	v_cndmask_b32_e64 v28, v29, v22, s[0:1]
	v_cmp_lt_f32_e64 s[0:1], s24, v29
	v_cndmask_b32_e64 v29, v28, v23, s[0:1]
	v_cndmask_b32_e32 v28, v27, v24, vcc
	v_fma_f32 v27, v17, s27, -v30
	v_fmac_f32_e32 v27, 0x32a5705f, v17
	v_sub_f32_e32 v30, v30, v32
	v_sub_f32_e32 v31, v31, v34
	v_add_f32_e32 v27, v30, v27
	v_add_f32_e32 v30, v31, v33
	v_cvt_i32_f32_e32 v32, v32
	v_cvt_i32_f32_e32 v34, v34
	v_exp_f32_e32 v27, v27
	v_exp_f32_e32 v30, v30
	v_cmp_ngt_f32_e32 vcc, s28, v16
	v_cmp_ngt_f32_e64 s[0:1], s28, v17
	v_ldexp_f32 v27, v27, v32
	v_ldexp_f32 v30, v30, v34
	v_cndmask_b32_e64 v27, 0, v27, s[0:1]
	v_cndmask_b32_e32 v30, 0, v30, vcc
	v_cmp_nlt_f32_e32 vcc, s29, v16
	v_cmp_nlt_f32_e64 s[0:1], s29, v17
	v_cndmask_b32_e64 v17, v25, v27, s[0:1]
	v_cndmask_b32_e32 v16, v25, v30, vcc
	v_pk_add_f32 v[16:17], v[16:17], 1.0 op_sel_hi:[1,0]
	v_div_scale_f32 v27, s[0:1], v17, v17, 1.0
	v_div_scale_f32 v31, s[0:1], v16, v16, 1.0
	v_rcp_f32_e32 v33, v27
	v_rcp_f32_e32 v34, v31
	v_div_scale_f32 v30, vcc, 1.0, v17, 1.0
	v_fma_f32 v35, -v27, v33, 1.0
	v_fma_f32 v36, -v31, v34, 1.0
	v_fmac_f32_e32 v33, v35, v33
	v_div_scale_f32 v32, s[0:1], 1.0, v16, 1.0
	v_fmac_f32_e32 v34, v36, v34
	v_mul_f32_e32 v35, v30, v33
	v_mul_f32_e32 v36, v32, v34
	v_fma_f32 v37, -v27, v35, v30
	v_fma_f32 v38, -v31, v36, v32
	v_fmac_f32_e32 v35, v37, v33
	v_fmac_f32_e32 v36, v38, v34
	v_fma_f32 v27, -v27, v35, v30
	v_fma_f32 v30, -v31, v36, v32
	v_div_fmas_f32 v27, v27, v33, v35
	s_mov_b64 vcc, s[0:1]
	v_div_fixup_f32 v17, v27, v17, 1.0
	v_div_fmas_f32 v27, v30, v34, v36
	v_div_fixup_f32 v16, v27, v16, 1.0
	v_pk_add_f32 v[28:29], v[28:29], 1.0 op_sel_hi:[1,0]
	v_pk_mul_f32 v[14:15], v[14:15], v[16:17]
	v_pk_mul_f32 v[14:15], v[28:29], v[14:15]
	global_store_dwordx2 v[10:11], v[14:15], off
	v_add_co_u32_e32 v10, vcc, s18, v10
	v_addc_co_u32_e32 v11, vcc, v11, v26, vcc
	s_andn2_b64 exec, exec, s[20:21]
	s_cbranch_execnz .LBB15_10
; %bb.11:
	s_or_b64 exec, exec, s[20:21]
	v_mad_u64_u32 v[0:1], s[0:1], v8, s11, v[0:1]
	v_mov_b32_e32 v2, v1
	v_mad_u64_u32 v[2:3], s[0:1], v9, s11, v[2:3]
	v_cmp_ne_u64_e32 vcc, v[6:7], v[8:9]
	s_andn2_b64 s[0:1], s[6:7], exec
	s_and_b64 s[6:7], vcc, exec
	v_mov_b32_e32 v1, v2
	v_pk_mov_b32 v[2:3], s[18:19], s[18:19] op_sel:[0,1]
	s_or_b64 s[6:7], s[0:1], s[6:7]
	s_or_b64 exec, exec, s[16:17]
	s_and_b64 exec, exec, s[6:7]
	s_cbranch_execz .LBB15_14
.LBB15_12:
	v_mov_b32_e32 v5, s5
	v_add_co_u32_e32 v4, vcc, s4, v0
	v_addc_co_u32_e32 v5, vcc, v1, v5, vcc
	v_lshlrev_b64 v[4:5], 3, v[4:5]
	s_waitcnt lgkmcnt(0)
	v_mov_b32_e32 v6, s15
	v_add_co_u32_e32 v4, vcc, s14, v4
	v_addc_co_u32_e32 v5, vcc, v5, v6, vcc
	s_lshl_b64 s[0:1], s[4:5], 2
	v_add_co_u32_e32 v4, vcc, 4, v4
	s_add_u32 s0, s12, s0
	v_addc_co_u32_e32 v5, vcc, 0, v5, vcc
	v_lshlrev_b64 v[6:7], 2, v[0:1]
	s_addc_u32 s1, s13, s1
	v_mov_b32_e32 v8, s1
	v_add_co_u32_e32 v6, vcc, s0, v6
	s_mov_b32 s8, 0
	v_addc_co_u32_e32 v7, vcc, v8, v7, vcc
	s_lshl_b32 s4, s11, 2
	s_mov_b64 s[0:1], 0
	v_mov_b32_e32 v8, s10
	s_mov_b32 s5, 0x3fb8aa3b
	s_mov_b32 s6, 0xc2ce8ed0
	;; [unrolled: 1-line block ×3, first 2 shown]
	v_mov_b32_e32 v9, 0x7f800000
	v_mov_b32_e32 v10, s22
	;; [unrolled: 1-line block ×3, first 2 shown]
.LBB15_13:                              ; =>This Inner Loop Header: Depth=1
	global_load_dwordx2 v[12:13], v[4:5], off offset:-4
	v_add_co_u32_e32 v0, vcc, s11, v0
	v_addc_co_u32_e32 v1, vcc, v1, v10, vcc
	v_add_co_u32_e32 v4, vcc, v4, v2
	v_addc_co_u32_e32 v5, vcc, v5, v3, vcc
	v_cmp_le_i64_e32 vcc, s[2:3], v[0:1]
	s_or_b64 s[0:1], vcc, s[0:1]
	s_waitcnt vmcnt(0)
	v_cmp_lt_f32_e64 s[12:13], v13, -s10
	v_cmp_lt_f32_e32 vcc, s10, v12
	v_cndmask_b32_e64 v14, v13, -v8, s[12:13]
	v_cndmask_b32_e32 v12, v12, v8, vcc
	v_cmp_lt_f32_e32 vcc, s10, v13
	v_cndmask_b32_e32 v13, v14, v8, vcc
	v_mul_f32_e64 v14, -v12, s9
	v_mul_f32_e32 v15, 0x3fb8aa3b, v14
	v_fma_f32 v16, v14, s5, -v15
	v_rndne_f32_e32 v17, v15
	v_fmac_f32_e32 v16, 0x32a5705f, v14
	v_sub_f32_e32 v15, v15, v17
	v_add_f32_e32 v15, v15, v16
	v_cvt_i32_f32_e32 v17, v17
	v_exp_f32_e32 v15, v15
	v_cmp_ngt_f32_e32 vcc, s6, v14
	v_add_f32_e32 v13, 1.0, v13
	v_ldexp_f32 v15, v15, v17
	v_cndmask_b32_e32 v15, 0, v15, vcc
	v_cmp_nlt_f32_e32 vcc, s7, v14
	v_cndmask_b32_e32 v14, v9, v15, vcc
	v_add_f32_e32 v14, 1.0, v14
	v_div_scale_f32 v15, s[12:13], v14, v14, 1.0
	v_rcp_f32_e32 v17, v15
	v_div_scale_f32 v16, vcc, 1.0, v14, 1.0
	v_fma_f32 v18, -v15, v17, 1.0
	v_fmac_f32_e32 v17, v18, v17
	v_mul_f32_e32 v18, v16, v17
	v_fma_f32 v19, -v15, v18, v16
	v_fmac_f32_e32 v18, v19, v17
	v_fma_f32 v15, -v15, v18, v16
	v_div_fmas_f32 v15, v15, v17, v18
	v_div_fixup_f32 v14, v15, v14, 1.0
	v_mul_f32_e32 v12, v12, v14
	v_mul_f32_e32 v12, v13, v12
	global_store_dword v[6:7], v12, off
	v_add_co_u32_e32 v6, vcc, s4, v6
	v_addc_co_u32_e32 v7, vcc, v7, v11, vcc
	s_andn2_b64 exec, exec, s[0:1]
	s_cbranch_execnz .LBB15_13
.LBB15_14:
	s_endpgm
	.section	.rodata,"a",@progbits
	.p2align	6, 0x0
	.amdhsa_kernel _ZN4vllm24swigluoai_and_mul_kernelIfTnPFT_RKS1_S3_ffEXadL_ZNS_17swigluoai_and_mulIfEES1_S3_S3_ffEEEEvPS1_PS2_iff
		.amdhsa_group_segment_fixed_size 0
		.amdhsa_private_segment_fixed_size 0
		.amdhsa_kernarg_size 288
		.amdhsa_user_sgpr_count 6
		.amdhsa_user_sgpr_private_segment_buffer 1
		.amdhsa_user_sgpr_dispatch_ptr 0
		.amdhsa_user_sgpr_queue_ptr 0
		.amdhsa_user_sgpr_kernarg_segment_ptr 1
		.amdhsa_user_sgpr_dispatch_id 0
		.amdhsa_user_sgpr_flat_scratch_init 0
		.amdhsa_user_sgpr_kernarg_preload_length 0
		.amdhsa_user_sgpr_kernarg_preload_offset 0
		.amdhsa_user_sgpr_private_segment_size 0
		.amdhsa_uses_dynamic_stack 0
		.amdhsa_system_sgpr_private_segment_wavefront_offset 0
		.amdhsa_system_sgpr_workgroup_id_x 1
		.amdhsa_system_sgpr_workgroup_id_y 0
		.amdhsa_system_sgpr_workgroup_id_z 0
		.amdhsa_system_sgpr_workgroup_info 0
		.amdhsa_system_vgpr_workitem_id 0
		.amdhsa_next_free_vgpr 39
		.amdhsa_next_free_sgpr 30
		.amdhsa_accum_offset 40
		.amdhsa_reserve_vcc 1
		.amdhsa_reserve_flat_scratch 0
		.amdhsa_float_round_mode_32 0
		.amdhsa_float_round_mode_16_64 0
		.amdhsa_float_denorm_mode_32 3
		.amdhsa_float_denorm_mode_16_64 3
		.amdhsa_dx10_clamp 1
		.amdhsa_ieee_mode 1
		.amdhsa_fp16_overflow 0
		.amdhsa_tg_split 0
		.amdhsa_exception_fp_ieee_invalid_op 0
		.amdhsa_exception_fp_denorm_src 0
		.amdhsa_exception_fp_ieee_div_zero 0
		.amdhsa_exception_fp_ieee_overflow 0
		.amdhsa_exception_fp_ieee_underflow 0
		.amdhsa_exception_fp_ieee_inexact 0
		.amdhsa_exception_int_div_zero 0
	.end_amdhsa_kernel
	.section	.text._ZN4vllm24swigluoai_and_mul_kernelIfTnPFT_RKS1_S3_ffEXadL_ZNS_17swigluoai_and_mulIfEES1_S3_S3_ffEEEEvPS1_PS2_iff,"axG",@progbits,_ZN4vllm24swigluoai_and_mul_kernelIfTnPFT_RKS1_S3_ffEXadL_ZNS_17swigluoai_and_mulIfEES1_S3_S3_ffEEEEvPS1_PS2_iff,comdat
.Lfunc_end15:
	.size	_ZN4vllm24swigluoai_and_mul_kernelIfTnPFT_RKS1_S3_ffEXadL_ZNS_17swigluoai_and_mulIfEES1_S3_S3_ffEEEEvPS1_PS2_iff, .Lfunc_end15-_ZN4vllm24swigluoai_and_mul_kernelIfTnPFT_RKS1_S3_ffEXadL_ZNS_17swigluoai_and_mulIfEES1_S3_S3_ffEEEEvPS1_PS2_iff
                                        ; -- End function
	.section	.AMDGPU.csdata,"",@progbits
; Kernel info:
; codeLenInByte = 2196
; NumSgprs: 34
; NumVgprs: 39
; NumAgprs: 0
; TotalNumVgprs: 39
; ScratchSize: 0
; MemoryBound: 0
; FloatMode: 240
; IeeeMode: 1
; LDSByteSize: 0 bytes/workgroup (compile time only)
; SGPRBlocks: 4
; VGPRBlocks: 4
; NumSGPRsForWavesPerEU: 34
; NumVGPRsForWavesPerEU: 39
; AccumOffset: 40
; Occupancy: 8
; WaveLimiterHint : 0
; COMPUTE_PGM_RSRC2:SCRATCH_EN: 0
; COMPUTE_PGM_RSRC2:USER_SGPR: 6
; COMPUTE_PGM_RSRC2:TRAP_HANDLER: 0
; COMPUTE_PGM_RSRC2:TGID_X_EN: 1
; COMPUTE_PGM_RSRC2:TGID_Y_EN: 0
; COMPUTE_PGM_RSRC2:TGID_Z_EN: 0
; COMPUTE_PGM_RSRC2:TIDIG_COMP_CNT: 0
; COMPUTE_PGM_RSRC3_GFX90A:ACCUM_OFFSET: 9
; COMPUTE_PGM_RSRC3_GFX90A:TG_SPLIT: 0
	.section	.text._ZN4vllm24swigluoai_and_mul_kernelIN3c104HalfETnPFT_RKS3_S5_ffEXadL_ZNS_17swigluoai_and_mulIS2_EES3_S5_S5_ffEEEEvPS3_PS4_iff,"axG",@progbits,_ZN4vllm24swigluoai_and_mul_kernelIN3c104HalfETnPFT_RKS3_S5_ffEXadL_ZNS_17swigluoai_and_mulIS2_EES3_S5_S5_ffEEEEvPS3_PS4_iff,comdat
	.protected	_ZN4vllm24swigluoai_and_mul_kernelIN3c104HalfETnPFT_RKS3_S5_ffEXadL_ZNS_17swigluoai_and_mulIS2_EES3_S5_S5_ffEEEEvPS3_PS4_iff ; -- Begin function _ZN4vllm24swigluoai_and_mul_kernelIN3c104HalfETnPFT_RKS3_S5_ffEXadL_ZNS_17swigluoai_and_mulIS2_EES3_S5_S5_ffEEEEvPS3_PS4_iff
	.globl	_ZN4vllm24swigluoai_and_mul_kernelIN3c104HalfETnPFT_RKS3_S5_ffEXadL_ZNS_17swigluoai_and_mulIS2_EES3_S5_S5_ffEEEEvPS3_PS4_iff
	.p2align	8
	.type	_ZN4vllm24swigluoai_and_mul_kernelIN3c104HalfETnPFT_RKS3_S5_ffEXadL_ZNS_17swigluoai_and_mulIS2_EES3_S5_S5_ffEEEEvPS3_PS4_iff,@function
_ZN4vllm24swigluoai_and_mul_kernelIN3c104HalfETnPFT_RKS3_S5_ffEXadL_ZNS_17swigluoai_and_mulIS2_EES3_S5_S5_ffEEEEvPS3_PS4_iff: ; @_ZN4vllm24swigluoai_and_mul_kernelIN3c104HalfETnPFT_RKS3_S5_ffEXadL_ZNS_17swigluoai_and_mulIS2_EES3_S5_S5_ffEEEEvPS3_PS4_iff
; %bb.0:
	s_load_dwordx4 s[16:19], s[4:5], 0x10
	s_waitcnt lgkmcnt(0)
	v_cmp_gt_i32_e32 vcc, s16, v0
	s_and_saveexec_b64 s[0:1], vcc
	s_cbranch_execz .LBB16_12
; %bb.1:
	s_load_dword s0, s[4:5], 0x2c
	s_mov_b32 s14, s16
	s_ashr_i32 s15, s16, 31
	v_mov_b32_e32 v2, s15
	v_mov_b32_e32 v1, 0
	s_waitcnt lgkmcnt(0)
	s_and_b32 s19, s0, 0xffff
	v_add_co_u32_e32 v4, vcc, s19, v0
	v_addc_co_u32_e64 v5, s[0:1], 0, 0, vcc
	v_cmp_lt_i64_e32 vcc, s[14:15], v[4:5]
	v_cndmask_b32_e32 v6, v2, v5, vcc
	v_mov_b32_e32 v2, s16
	v_cndmask_b32_e32 v3, v2, v4, vcc
	v_cmp_gt_i64_e32 vcc, s[14:15], v[4:5]
	v_cndmask_b32_e64 v2, 0, 1, vcc
	v_add_co_u32_e32 v4, vcc, v4, v2
	v_addc_co_u32_e32 v5, vcc, 0, v5, vcc
	v_sub_co_u32_e32 v3, vcc, v3, v4
	v_subb_co_u32_e32 v5, vcc, v6, v5, vcc
	v_mov_b32_e32 v4, v1
	s_mov_b32 s33, 0
	v_cmp_ne_u64_e32 vcc, 0, v[4:5]
                                        ; implicit-def: $vgpr6_vgpr7
	s_and_saveexec_b64 s[0:1], vcc
	s_xor_b64 s[2:3], exec, s[0:1]
	s_cbranch_execz .LBB16_3
; %bb.2:
	v_cvt_f32_u32_e32 v4, s19
	v_mov_b32_e32 v6, 0x4f800000
	s_sub_u32 s0, 0, s19
	s_subb_u32 s1, 0, 0
	v_mac_f32_e32 v4, 0, v6
	v_rcp_f32_e32 v4, v4
	v_mul_f32_e32 v4, 0x5f7ffffc, v4
	v_mul_f32_e32 v6, 0x2f800000, v4
	v_trunc_f32_e32 v6, v6
	v_madmk_f32 v4, v6, 0xcf800000, v4
	v_cvt_u32_f32_e32 v6, v6
	v_cvt_u32_f32_e32 v4, v4
	v_mul_lo_u32 v7, s0, v6
	v_mul_hi_u32 v9, s0, v4
	v_mul_lo_u32 v8, s1, v4
	v_add_u32_e32 v7, v9, v7
	v_mul_lo_u32 v10, s0, v4
	v_add_u32_e32 v7, v7, v8
	v_mul_hi_u32 v9, v4, v10
	v_mul_lo_u32 v11, v4, v7
	v_mul_hi_u32 v8, v4, v7
	v_add_co_u32_e32 v9, vcc, v9, v11
	v_addc_co_u32_e32 v8, vcc, 0, v8, vcc
	v_mul_hi_u32 v12, v6, v10
	v_mul_lo_u32 v10, v6, v10
	v_add_co_u32_e32 v9, vcc, v9, v10
	v_mul_hi_u32 v11, v6, v7
	v_addc_co_u32_e32 v8, vcc, v8, v12, vcc
	v_addc_co_u32_e32 v9, vcc, 0, v11, vcc
	v_mul_lo_u32 v7, v6, v7
	v_add_co_u32_e32 v7, vcc, v8, v7
	v_addc_co_u32_e32 v8, vcc, 0, v9, vcc
	v_add_co_u32_e32 v4, vcc, v4, v7
	v_addc_co_u32_e32 v6, vcc, v6, v8, vcc
	v_mul_lo_u32 v7, s0, v6
	v_mul_hi_u32 v8, s0, v4
	v_add_u32_e32 v7, v8, v7
	v_mul_lo_u32 v8, s1, v4
	v_add_u32_e32 v7, v7, v8
	v_mul_lo_u32 v9, s0, v4
	v_mul_hi_u32 v10, v6, v9
	v_mul_lo_u32 v11, v6, v9
	v_mul_lo_u32 v13, v4, v7
	v_mul_hi_u32 v9, v4, v9
	v_mul_hi_u32 v12, v4, v7
	v_add_co_u32_e32 v9, vcc, v9, v13
	v_addc_co_u32_e32 v12, vcc, 0, v12, vcc
	v_add_co_u32_e32 v9, vcc, v9, v11
	v_mul_hi_u32 v8, v6, v7
	v_addc_co_u32_e32 v9, vcc, v12, v10, vcc
	v_addc_co_u32_e32 v8, vcc, 0, v8, vcc
	v_mul_lo_u32 v7, v6, v7
	v_add_co_u32_e32 v7, vcc, v9, v7
	v_addc_co_u32_e32 v8, vcc, 0, v8, vcc
	v_add_co_u32_e32 v4, vcc, v4, v7
	v_addc_co_u32_e32 v8, vcc, v6, v8, vcc
	v_mad_u64_u32 v[6:7], s[0:1], v3, v8, 0
	v_mul_hi_u32 v9, v3, v4
	v_add_co_u32_e32 v10, vcc, v9, v6
	v_addc_co_u32_e32 v11, vcc, 0, v7, vcc
	v_mad_u64_u32 v[6:7], s[0:1], v5, v8, 0
	v_mad_u64_u32 v[8:9], s[0:1], v5, v4, 0
	v_add_co_u32_e32 v4, vcc, v10, v8
	v_addc_co_u32_e32 v4, vcc, v11, v9, vcc
	v_addc_co_u32_e32 v7, vcc, 0, v7, vcc
	v_add_co_u32_e32 v10, vcc, v4, v6
	v_addc_co_u32_e32 v11, vcc, 0, v7, vcc
	v_mad_u64_u32 v[6:7], s[0:1], s19, v10, 0
	v_mov_b32_e32 v4, v7
	v_mad_u64_u32 v[8:9], s[0:1], s19, v11, v[4:5]
	v_sub_co_u32_e32 v3, vcc, v3, v6
	v_subb_co_u32_e32 v4, vcc, v5, v8, vcc
	v_subrev_co_u32_e32 v5, vcc, s19, v3
	v_subbrev_co_u32_e32 v6, vcc, 0, v4, vcc
	v_cmp_le_u32_e32 vcc, s19, v5
	v_cndmask_b32_e64 v5, 0, -1, vcc
	v_cmp_eq_u32_e32 vcc, 0, v6
	v_cndmask_b32_e32 v5, -1, v5, vcc
	v_add_co_u32_e32 v6, vcc, 2, v10
	v_addc_co_u32_e32 v7, vcc, 0, v11, vcc
	v_add_co_u32_e32 v8, vcc, 1, v10
	v_cmp_le_u32_e64 s[0:1], s19, v3
	v_addc_co_u32_e32 v9, vcc, 0, v11, vcc
	v_cndmask_b32_e64 v3, 0, -1, s[0:1]
	v_cmp_eq_u32_e64 s[0:1], 0, v4
	v_cmp_ne_u32_e32 vcc, 0, v5
	v_cndmask_b32_e64 v3, -1, v3, s[0:1]
	v_cndmask_b32_e32 v5, v9, v7, vcc
	v_cmp_ne_u32_e64 s[0:1], 0, v3
	v_cndmask_b32_e32 v3, v8, v6, vcc
	v_cndmask_b32_e64 v7, v11, v5, s[0:1]
	v_cndmask_b32_e64 v6, v10, v3, s[0:1]
                                        ; implicit-def: $vgpr3
.LBB16_3:
	s_or_saveexec_b64 s[0:1], s[2:3]
	s_load_dwordx4 s[20:23], s[4:5], 0x0
	s_xor_b64 exec, exec, s[0:1]
	s_cbranch_execz .LBB16_5
; %bb.4:
	v_cvt_f32_u32_e32 v4, s19
	s_sub_i32 s2, 0, s19
	v_mov_b32_e32 v7, 0
	v_rcp_iflag_f32_e32 v4, v4
	v_mul_f32_e32 v4, 0x4f7ffffe, v4
	v_cvt_u32_f32_e32 v4, v4
	v_mul_lo_u32 v5, s2, v4
	v_mul_hi_u32 v5, v4, v5
	v_add_u32_e32 v4, v4, v5
	v_mul_hi_u32 v4, v3, v4
	v_mul_lo_u32 v5, v4, s19
	v_sub_u32_e32 v3, v3, v5
	v_add_u32_e32 v6, 1, v4
	v_subrev_u32_e32 v5, s19, v3
	v_cmp_le_u32_e32 vcc, s19, v3
	v_cndmask_b32_e32 v3, v3, v5, vcc
	v_cndmask_b32_e32 v4, v4, v6, vcc
	v_add_u32_e32 v5, 1, v4
	v_cmp_le_u32_e32 vcc, s19, v3
	v_cndmask_b32_e32 v6, v4, v5, vcc
.LBB16_5:
	s_or_b64 exec, exec, s[0:1]
	v_add_co_u32_e32 v2, vcc, v6, v2
	v_addc_co_u32_e32 v3, vcc, 0, v7, vcc
	v_add_co_u32_e32 v10, vcc, 1, v2
	s_mul_i32 s0, s6, s15
	s_mul_hi_u32 s1, s6, s14
	v_addc_co_u32_e32 v11, vcc, 0, v3, vcc
	s_add_i32 s25, s1, s0
	v_cmp_lt_u64_e32 vcc, 3, v[10:11]
	v_cmp_eq_u16_e64 s[0:1], s19, 1
	s_mul_i32 s24, s6, s14
	s_and_b64 s[2:3], vcc, s[0:1]
	s_mov_b64 s[0:1], -1
	s_and_saveexec_b64 s[26:27], s[2:3]
	s_cbranch_execz .LBB16_9
; %bb.6:
	s_lshl_b64 s[0:1], s[24:25], 1
	s_waitcnt lgkmcnt(0)
	s_add_u32 s2, s20, s0
	s_addc_u32 s3, s21, s1
	v_lshlrev_b32_e32 v8, 1, v0
	v_mad_u64_u32 v[6:7], s[0:1], s19, 3, v[0:1]
	v_mad_u64_u32 v[4:5], s[0:1], s19, 2, v[0:1]
	;; [unrolled: 1-line block ×3, first 2 shown]
	v_mov_b32_e32 v9, s3
	v_add_co_u32_e32 v14, vcc, s2, v8
	v_and_b32_e32 v12, -4, v10
	v_mov_b32_e32 v13, v11
	s_xor_b32 s42, s18, 0x80000000
	s_mov_b32 s5, 0
	v_addc_co_u32_e32 v15, vcc, 0, v9, vcc
	v_pk_mov_b32 v[8:9], v[6:7], v[6:7] op_sel:[0,1]
	s_mov_b32 s16, s24
	s_mov_b32 s36, s24
	;; [unrolled: 1-line block ×14, first 2 shown]
	s_lshl_b32 s46, s19, 3
	s_mov_b64 s[34:35], 0
	v_mov_b32_e32 v18, s25
	v_mov_b32_e32 v19, s25
	;; [unrolled: 1-line block ×12, first 2 shown]
	s_mov_b32 s47, 0x3fb8aa3b
	s_mov_b32 s48, 0xc2ce8ed0
	;; [unrolled: 1-line block ×3, first 2 shown]
	v_mov_b32_e32 v30, 0x7f800000
	v_mov_b32_e32 v31, s5
	;; [unrolled: 1-line block ×3, first 2 shown]
	v_pk_mov_b32 v[16:17], v[12:13], v[12:13] op_sel:[0,1]
	v_pk_mov_b32 v[6:7], v[4:5], v[4:5] op_sel:[0,1]
	;; [unrolled: 1-line block ×4, first 2 shown]
.LBB16_7:                               ; =>This Inner Loop Header: Depth=1
	v_add_co_u32_e32 v34, vcc, s37, v8
	v_addc_co_u32_e32 v35, vcc, v9, v18, vcc
	v_add_co_u32_e32 v36, vcc, s36, v6
	v_addc_co_u32_e32 v37, vcc, v7, v19, vcc
	;; [unrolled: 2-line block ×4, first 2 shown]
	v_lshlrev_b64 v[42:43], 1, v[40:41]
	v_lshlrev_b64 v[40:41], 2, v[40:41]
	v_add_co_u32_e32 v40, vcc, s22, v40
	v_lshlrev_b64 v[44:45], 1, v[38:39]
	v_addc_co_u32_e32 v41, vcc, v21, v41, vcc
	v_lshlrev_b64 v[38:39], 2, v[38:39]
	v_add_co_u32_e32 v38, vcc, s22, v38
	v_lshlrev_b64 v[46:47], 1, v[36:37]
	v_addc_co_u32_e32 v39, vcc, v21, v39, vcc
	v_lshlrev_b64 v[36:37], 2, v[36:37]
	v_add_co_u32_e32 v36, vcc, s22, v36
	v_lshlrev_b64 v[48:49], 1, v[34:35]
	v_addc_co_u32_e32 v37, vcc, v21, v37, vcc
	v_lshlrev_b64 v[34:35], 2, v[34:35]
	v_add_co_u32_e32 v34, vcc, s22, v34
	v_addc_co_u32_e32 v35, vcc, v21, v35, vcc
	v_or_b32_e32 v42, 1, v42
	global_load_ushort v33, v[40:41], off
	global_load_ushort v50, v[38:39], off
	;; [unrolled: 1-line block ×4, first 2 shown]
	v_lshlrev_b64 v[34:35], 1, v[42:43]
	v_or_b32_e32 v44, 1, v44
	v_add_co_u32_e32 v34, vcc, s22, v34
	v_addc_co_u32_e32 v35, vcc, v21, v35, vcc
	v_lshlrev_b64 v[36:37], 1, v[44:45]
	v_or_b32_e32 v46, 1, v46
	v_add_co_u32_e32 v36, vcc, s22, v36
	v_addc_co_u32_e32 v37, vcc, v21, v37, vcc
	;; [unrolled: 4-line block ×3, first 2 shown]
	v_lshlrev_b64 v[40:41], 1, v[48:49]
	v_add_co_u32_e32 v40, vcc, s22, v40
	v_addc_co_u32_e32 v41, vcc, v21, v41, vcc
	global_load_ushort v42, v[34:35], off
	global_load_ushort v43, v[36:37], off
	global_load_ushort v44, v[38:39], off
	global_load_ushort v45, v[40:41], off
	s_waitcnt vmcnt(7)
	v_cvt_f32_f16_e32 v33, v33
	s_waitcnt vmcnt(6)
	v_cvt_f32_f16_e32 v41, v50
	s_waitcnt vmcnt(5)
	v_cvt_f32_f16_e32 v38, v51
	s_waitcnt vmcnt(4)
	v_cvt_f32_f16_e32 v39, v52
	s_waitcnt vmcnt(3)
	v_cvt_f32_f16_e32 v35, v42
	s_waitcnt vmcnt(2)
	v_cvt_f32_f16_e32 v34, v43
	s_waitcnt vmcnt(1)
	v_cvt_f32_f16_e32 v37, v44
	s_waitcnt vmcnt(0)
	v_cvt_f32_f16_e32 v36, v45
	v_cmp_gt_f32_e64 s[8:9], s42, v35
	v_cmp_gt_f32_e64 s[6:7], s43, v34
	;; [unrolled: 1-line block ×4, first 2 shown]
	v_cmp_lt_f32_e32 vcc, s40, v37
	v_cmp_lt_f32_e64 s[0:1], s41, v36
	v_cmp_lt_f32_e64 s[2:3], s38, v35
	;; [unrolled: 1-line block ×3, first 2 shown]
	v_cndmask_b32_e64 v40, v37, v22, s[12:13]
	v_cndmask_b32_e64 v36, v36, v23, s[10:11]
	;; [unrolled: 1-line block ×7, first 2 shown]
	v_cndmask_b32_e32 v36, v40, v29, vcc
	v_cmp_lt_f32_e32 vcc, s39, v41
	v_cmp_lt_f32_e64 s[0:1], s38, v33
	v_cndmask_b32_e64 v40, v33, v27, s[0:1]
	v_cndmask_b32_e32 v41, v41, v26, vcc
	v_xor_b32_e32 v43, 0x80000000, v41
	v_xor_b32_e32 v42, 0x80000000, v40
	v_pk_mul_f32 v[42:43], s[28:29], v[42:43]
	v_mul_f32_e32 v33, 0x3fb8aa3b, v43
	v_fma_f32 v46, v43, s47, -v33
	v_rndne_f32_e32 v47, v33
	v_fmac_f32_e32 v46, 0x32a5705f, v43
	v_sub_f32_e32 v33, v33, v47
	v_add_f32_e32 v33, v33, v46
	v_exp_f32_e32 v33, v33
	v_cvt_i32_f32_e32 v46, v47
	v_cmp_ngt_f32_e32 vcc, s48, v43
	v_cmp_lt_f32_e64 s[2:3], s41, v39
	v_cmp_lt_f32_e64 s[4:5], s40, v38
	v_ldexp_f32 v33, v33, v46
	v_cndmask_b32_e32 v33, 0, v33, vcc
	v_cmp_nlt_f32_e32 vcc, s49, v43
	v_cndmask_b32_e32 v43, v30, v33, vcc
	v_mul_f32_e32 v33, 0x3fb8aa3b, v42
	v_fma_f32 v46, v42, s47, -v33
	v_rndne_f32_e32 v47, v33
	v_fmac_f32_e32 v46, 0x32a5705f, v42
	v_sub_f32_e32 v33, v33, v47
	v_add_f32_e32 v33, v33, v46
	v_exp_f32_e32 v33, v33
	v_cvt_i32_f32_e32 v46, v47
	v_cndmask_b32_e64 v38, v38, v29, s[4:5]
	v_cndmask_b32_e64 v39, v39, v28, s[2:3]
	v_xor_b32_e32 v45, 0x80000000, v39
	v_xor_b32_e32 v44, 0x80000000, v38
	v_ldexp_f32 v33, v33, v46
	v_cmp_ngt_f32_e32 vcc, s48, v42
	v_pk_mul_f32 v[44:45], s[30:31], v[44:45]
	v_cndmask_b32_e32 v33, 0, v33, vcc
	v_cmp_nlt_f32_e32 vcc, s49, v42
	v_cndmask_b32_e32 v42, v30, v33, vcc
	v_mul_f32_e32 v33, 0x3fb8aa3b, v45
	v_fma_f32 v46, v45, s47, -v33
	v_rndne_f32_e32 v47, v33
	v_fmac_f32_e32 v46, 0x32a5705f, v45
	v_sub_f32_e32 v33, v33, v47
	v_add_f32_e32 v33, v33, v46
	v_exp_f32_e32 v33, v33
	v_cvt_i32_f32_e32 v46, v47
	v_cmp_ngt_f32_e32 vcc, s48, v45
	v_pk_add_f32 v[42:43], v[42:43], 1.0 op_sel_hi:[1,0]
	v_pk_add_f32 v[36:37], v[36:37], 1.0 op_sel_hi:[1,0]
	v_ldexp_f32 v33, v33, v46
	v_cndmask_b32_e32 v33, 0, v33, vcc
	v_cmp_nlt_f32_e32 vcc, s49, v45
	v_cndmask_b32_e32 v45, v30, v33, vcc
	v_mul_f32_e32 v33, 0x3fb8aa3b, v44
	v_fma_f32 v46, v44, s47, -v33
	v_rndne_f32_e32 v47, v33
	v_fmac_f32_e32 v46, 0x32a5705f, v44
	v_sub_f32_e32 v33, v33, v47
	v_add_f32_e32 v33, v33, v46
	v_exp_f32_e32 v33, v33
	v_cvt_i32_f32_e32 v46, v47
	v_cmp_ngt_f32_e32 vcc, s48, v44
	v_pk_add_f32 v[34:35], v[34:35], 1.0 op_sel_hi:[1,0]
	v_ldexp_f32 v33, v33, v46
	v_cndmask_b32_e32 v33, 0, v33, vcc
	v_cmp_nlt_f32_e32 vcc, s49, v44
	v_cndmask_b32_e32 v44, v30, v33, vcc
	v_div_scale_f32 v33, s[0:1], v43, v43, 1.0
	v_rcp_f32_e32 v46, v33
	v_pk_add_f32 v[44:45], v[44:45], 1.0 op_sel_hi:[1,0]
	v_fma_f32 v47, -v33, v46, 1.0
	v_fmac_f32_e32 v46, v47, v46
	v_div_scale_f32 v47, vcc, 1.0, v43, 1.0
	v_mul_f32_e32 v48, v47, v46
	v_fma_f32 v49, -v33, v48, v47
	v_fmac_f32_e32 v48, v49, v46
	v_fma_f32 v33, -v33, v48, v47
	v_div_fmas_f32 v33, v33, v46, v48
	v_div_fixup_f32 v43, v33, v43, 1.0
	v_div_scale_f32 v33, s[0:1], v42, v42, 1.0
	v_rcp_f32_e32 v46, v33
	v_fma_f32 v47, -v33, v46, 1.0
	v_fmac_f32_e32 v46, v47, v46
	v_div_scale_f32 v47, vcc, 1.0, v42, 1.0
	v_mul_f32_e32 v48, v47, v46
	v_fma_f32 v49, -v33, v48, v47
	v_fmac_f32_e32 v48, v49, v46
	v_fma_f32 v33, -v33, v48, v47
	v_div_fmas_f32 v33, v33, v46, v48
	v_div_fixup_f32 v42, v33, v42, 1.0
	v_div_scale_f32 v33, s[0:1], v45, v45, 1.0
	v_rcp_f32_e32 v46, v33
	v_pk_mul_f32 v[40:41], v[40:41], v[42:43]
	v_pk_mul_f32 v[34:35], v[34:35], v[40:41]
	v_cvt_f16_f32_e32 v34, v34
	v_fma_f32 v47, -v33, v46, 1.0
	v_fmac_f32_e32 v46, v47, v46
	v_div_scale_f32 v47, vcc, 1.0, v45, 1.0
	v_mul_f32_e32 v48, v47, v46
	v_fma_f32 v49, -v33, v48, v47
	v_fmac_f32_e32 v48, v49, v46
	v_fma_f32 v33, -v33, v48, v47
	v_div_fmas_f32 v33, v33, v46, v48
	v_div_fixup_f32 v45, v33, v45, 1.0
	v_div_scale_f32 v33, s[0:1], v44, v44, 1.0
	v_rcp_f32_e32 v46, v33
	v_fma_f32 v47, -v33, v46, 1.0
	v_fmac_f32_e32 v46, v47, v46
	v_div_scale_f32 v47, vcc, 1.0, v44, 1.0
	v_mul_f32_e32 v48, v47, v46
	v_fma_f32 v49, -v33, v48, v47
	v_fmac_f32_e32 v48, v49, v46
	v_fma_f32 v33, -v33, v48, v47
	v_div_fmas_f32 v33, v33, v46, v48
	v_div_fixup_f32 v44, v33, v44, 1.0
	v_pk_mul_f32 v[38:39], v[38:39], v[44:45]
	v_pk_mul_f32 v[36:37], v[36:37], v[38:39]
	v_add_co_u32_e32 v8, vcc, 4, v8
	v_cvt_f16_f32_e32 v33, v37
	v_cvt_f16_f32_e32 v36, v36
	v_addc_co_u32_e32 v9, vcc, 0, v9, vcc
	v_add_co_u32_e32 v6, vcc, 4, v6
	v_addc_co_u32_e32 v7, vcc, 0, v7, vcc
	v_add_co_u32_e32 v4, vcc, 4, v4
	v_pack_b32_f16 v37, v36, v33
	v_cvt_f16_f32_e32 v33, v35
	v_addc_co_u32_e32 v5, vcc, 0, v5, vcc
	v_add_co_u32_e32 v2, vcc, 4, v2
	v_addc_co_u32_e32 v3, vcc, 0, v3, vcc
	v_add_co_u32_e32 v16, vcc, -4, v16
	v_pack_b32_f16 v36, v34, v33
	v_addc_co_u32_e32 v17, vcc, -1, v17, vcc
	global_store_dwordx2 v[14:15], v[36:37], off
	v_add_co_u32_e32 v14, vcc, s46, v14
	v_addc_co_u32_e32 v15, vcc, v15, v31, vcc
	v_cmp_eq_u64_e32 vcc, 0, v[16:17]
	s_or_b64 s[34:35], vcc, s[34:35]
	s_andn2_b64 exec, exec, s[34:35]
	s_cbranch_execnz .LBB16_7
; %bb.8:
	s_or_b64 exec, exec, s[34:35]
	v_mad_u64_u32 v[0:1], s[0:1], v12, s19, v[0:1]
	v_mov_b32_e32 v2, v1
	v_mad_u64_u32 v[2:3], s[0:1], v13, s19, v[2:3]
	v_cmp_ne_u64_e32 vcc, v[10:11], v[12:13]
	v_mov_b32_e32 v1, v2
	s_orn2_b64 s[0:1], vcc, exec
.LBB16_9:
	s_or_b64 exec, exec, s[26:27]
	s_and_b64 exec, exec, s[0:1]
	s_cbranch_execz .LBB16_12
; %bb.10:
	v_mov_b32_e32 v3, s25
	v_add_co_u32_e32 v2, vcc, s24, v0
	v_addc_co_u32_e32 v3, vcc, v1, v3, vcc
	v_lshlrev_b64 v[2:3], 2, v[2:3]
	s_waitcnt lgkmcnt(0)
	v_mov_b32_e32 v4, s23
	v_add_co_u32_e32 v2, vcc, s22, v2
	v_addc_co_u32_e32 v3, vcc, v3, v4, vcc
	s_lshl_b32 s2, s19, 2
	s_lshl_b64 s[0:1], s[24:25], 1
	v_add_co_u32_e32 v2, vcc, 2, v2
	s_add_u32 s0, s20, s0
	v_addc_co_u32_e32 v3, vcc, 0, v3, vcc
	v_lshlrev_b64 v[4:5], 1, v[0:1]
	s_addc_u32 s1, s21, s1
	s_mov_b32 s7, 0
	v_mov_b32_e32 v6, s1
	v_add_co_u32_e32 v4, vcc, s0, v4
	v_addc_co_u32_e32 v5, vcc, v6, v5, vcc
	s_lshl_b32 s3, s19, 1
	s_mov_b64 s[0:1], 0
	v_mov_b32_e32 v6, s18
	s_mov_b32 s4, 0x3fb8aa3b
	s_mov_b32 s5, 0xc2ce8ed0
	;; [unrolled: 1-line block ×3, first 2 shown]
	v_mov_b32_e32 v7, 0x7f800000
	v_mov_b32_e32 v8, s33
	;; [unrolled: 1-line block ×4, first 2 shown]
.LBB16_11:                              ; =>This Inner Loop Header: Depth=1
	global_load_dword v11, v[2:3], off offset:-2
	v_add_co_u32_e32 v0, vcc, s19, v0
	v_addc_co_u32_e32 v1, vcc, v1, v8, vcc
	v_add_co_u32_e32 v2, vcc, s2, v2
	v_addc_co_u32_e32 v3, vcc, v3, v9, vcc
	v_cmp_le_i64_e32 vcc, s[14:15], v[0:1]
	s_or_b64 s[0:1], vcc, s[0:1]
	s_waitcnt vmcnt(0)
	v_cvt_f32_f16_sdwa v12, v11 dst_sel:DWORD dst_unused:UNUSED_PAD src0_sel:WORD_1
	v_cvt_f32_f16_e32 v11, v11
	v_cmp_lt_f32_e64 s[8:9], v12, -s18
	v_cmp_lt_f32_e32 vcc, s18, v11
	v_cndmask_b32_e64 v13, v12, -v6, s[8:9]
	v_cndmask_b32_e32 v11, v11, v6, vcc
	v_cmp_lt_f32_e32 vcc, s18, v12
	v_cndmask_b32_e32 v12, v13, v6, vcc
	v_mul_f32_e64 v13, -v11, s17
	v_mul_f32_e32 v14, 0x3fb8aa3b, v13
	v_fma_f32 v15, v13, s4, -v14
	v_rndne_f32_e32 v16, v14
	v_fmac_f32_e32 v15, 0x32a5705f, v13
	v_sub_f32_e32 v14, v14, v16
	v_add_f32_e32 v14, v14, v15
	v_cvt_i32_f32_e32 v16, v16
	v_exp_f32_e32 v14, v14
	v_cmp_ngt_f32_e32 vcc, s5, v13
	v_add_f32_e32 v12, 1.0, v12
	v_ldexp_f32 v14, v14, v16
	v_cndmask_b32_e32 v14, 0, v14, vcc
	v_cmp_nlt_f32_e32 vcc, s6, v13
	v_cndmask_b32_e32 v13, v7, v14, vcc
	v_add_f32_e32 v13, 1.0, v13
	v_div_scale_f32 v14, s[8:9], v13, v13, 1.0
	v_rcp_f32_e32 v16, v14
	v_div_scale_f32 v15, vcc, 1.0, v13, 1.0
	v_fma_f32 v17, -v14, v16, 1.0
	v_fmac_f32_e32 v16, v17, v16
	v_mul_f32_e32 v17, v15, v16
	v_fma_f32 v18, -v14, v17, v15
	v_fmac_f32_e32 v17, v18, v16
	v_fma_f32 v14, -v14, v17, v15
	v_div_fmas_f32 v14, v14, v16, v17
	v_div_fixup_f32 v13, v14, v13, 1.0
	v_mul_f32_e32 v11, v11, v13
	v_fma_mixlo_f16 v11, v12, v11, 0
	global_store_short v[4:5], v11, off
	v_add_co_u32_e32 v4, vcc, s3, v4
	v_addc_co_u32_e32 v5, vcc, v5, v10, vcc
	s_andn2_b64 exec, exec, s[0:1]
	s_cbranch_execnz .LBB16_11
.LBB16_12:
	s_endpgm
	.section	.rodata,"a",@progbits
	.p2align	6, 0x0
	.amdhsa_kernel _ZN4vllm24swigluoai_and_mul_kernelIN3c104HalfETnPFT_RKS3_S5_ffEXadL_ZNS_17swigluoai_and_mulIS2_EES3_S5_S5_ffEEEEvPS3_PS4_iff
		.amdhsa_group_segment_fixed_size 0
		.amdhsa_private_segment_fixed_size 0
		.amdhsa_kernarg_size 288
		.amdhsa_user_sgpr_count 6
		.amdhsa_user_sgpr_private_segment_buffer 1
		.amdhsa_user_sgpr_dispatch_ptr 0
		.amdhsa_user_sgpr_queue_ptr 0
		.amdhsa_user_sgpr_kernarg_segment_ptr 1
		.amdhsa_user_sgpr_dispatch_id 0
		.amdhsa_user_sgpr_flat_scratch_init 0
		.amdhsa_user_sgpr_kernarg_preload_length 0
		.amdhsa_user_sgpr_kernarg_preload_offset 0
		.amdhsa_user_sgpr_private_segment_size 0
		.amdhsa_uses_dynamic_stack 0
		.amdhsa_system_sgpr_private_segment_wavefront_offset 0
		.amdhsa_system_sgpr_workgroup_id_x 1
		.amdhsa_system_sgpr_workgroup_id_y 0
		.amdhsa_system_sgpr_workgroup_id_z 0
		.amdhsa_system_sgpr_workgroup_info 0
		.amdhsa_system_vgpr_workitem_id 0
		.amdhsa_next_free_vgpr 53
		.amdhsa_next_free_sgpr 50
		.amdhsa_accum_offset 56
		.amdhsa_reserve_vcc 1
		.amdhsa_reserve_flat_scratch 0
		.amdhsa_float_round_mode_32 0
		.amdhsa_float_round_mode_16_64 0
		.amdhsa_float_denorm_mode_32 3
		.amdhsa_float_denorm_mode_16_64 3
		.amdhsa_dx10_clamp 1
		.amdhsa_ieee_mode 1
		.amdhsa_fp16_overflow 0
		.amdhsa_tg_split 0
		.amdhsa_exception_fp_ieee_invalid_op 0
		.amdhsa_exception_fp_denorm_src 0
		.amdhsa_exception_fp_ieee_div_zero 0
		.amdhsa_exception_fp_ieee_overflow 0
		.amdhsa_exception_fp_ieee_underflow 0
		.amdhsa_exception_fp_ieee_inexact 0
		.amdhsa_exception_int_div_zero 0
	.end_amdhsa_kernel
	.section	.text._ZN4vllm24swigluoai_and_mul_kernelIN3c104HalfETnPFT_RKS3_S5_ffEXadL_ZNS_17swigluoai_and_mulIS2_EES3_S5_S5_ffEEEEvPS3_PS4_iff,"axG",@progbits,_ZN4vllm24swigluoai_and_mul_kernelIN3c104HalfETnPFT_RKS3_S5_ffEXadL_ZNS_17swigluoai_and_mulIS2_EES3_S5_S5_ffEEEEvPS3_PS4_iff,comdat
.Lfunc_end16:
	.size	_ZN4vllm24swigluoai_and_mul_kernelIN3c104HalfETnPFT_RKS3_S5_ffEXadL_ZNS_17swigluoai_and_mulIS2_EES3_S5_S5_ffEEEEvPS3_PS4_iff, .Lfunc_end16-_ZN4vllm24swigluoai_and_mul_kernelIN3c104HalfETnPFT_RKS3_S5_ffEXadL_ZNS_17swigluoai_and_mulIS2_EES3_S5_S5_ffEEEEvPS3_PS4_iff
                                        ; -- End function
	.section	.AMDGPU.csdata,"",@progbits
; Kernel info:
; codeLenInByte = 2876
; NumSgprs: 54
; NumVgprs: 53
; NumAgprs: 0
; TotalNumVgprs: 53
; ScratchSize: 0
; MemoryBound: 0
; FloatMode: 240
; IeeeMode: 1
; LDSByteSize: 0 bytes/workgroup (compile time only)
; SGPRBlocks: 6
; VGPRBlocks: 6
; NumSGPRsForWavesPerEU: 54
; NumVGPRsForWavesPerEU: 53
; AccumOffset: 56
; Occupancy: 8
; WaveLimiterHint : 0
; COMPUTE_PGM_RSRC2:SCRATCH_EN: 0
; COMPUTE_PGM_RSRC2:USER_SGPR: 6
; COMPUTE_PGM_RSRC2:TRAP_HANDLER: 0
; COMPUTE_PGM_RSRC2:TGID_X_EN: 1
; COMPUTE_PGM_RSRC2:TGID_Y_EN: 0
; COMPUTE_PGM_RSRC2:TGID_Z_EN: 0
; COMPUTE_PGM_RSRC2:TIDIG_COMP_CNT: 0
; COMPUTE_PGM_RSRC3_GFX90A:ACCUM_OFFSET: 13
; COMPUTE_PGM_RSRC3_GFX90A:TG_SPLIT: 0
	.section	.text._ZN4vllm24swigluoai_and_mul_kernelIN3c108BFloat16ETnPFT_RKS3_S5_ffEXadL_ZNS_17swigluoai_and_mulIS2_EES3_S5_S5_ffEEEEvPS3_PS4_iff,"axG",@progbits,_ZN4vllm24swigluoai_and_mul_kernelIN3c108BFloat16ETnPFT_RKS3_S5_ffEXadL_ZNS_17swigluoai_and_mulIS2_EES3_S5_S5_ffEEEEvPS3_PS4_iff,comdat
	.protected	_ZN4vllm24swigluoai_and_mul_kernelIN3c108BFloat16ETnPFT_RKS3_S5_ffEXadL_ZNS_17swigluoai_and_mulIS2_EES3_S5_S5_ffEEEEvPS3_PS4_iff ; -- Begin function _ZN4vllm24swigluoai_and_mul_kernelIN3c108BFloat16ETnPFT_RKS3_S5_ffEXadL_ZNS_17swigluoai_and_mulIS2_EES3_S5_S5_ffEEEEvPS3_PS4_iff
	.globl	_ZN4vllm24swigluoai_and_mul_kernelIN3c108BFloat16ETnPFT_RKS3_S5_ffEXadL_ZNS_17swigluoai_and_mulIS2_EES3_S5_S5_ffEEEEvPS3_PS4_iff
	.p2align	8
	.type	_ZN4vllm24swigluoai_and_mul_kernelIN3c108BFloat16ETnPFT_RKS3_S5_ffEXadL_ZNS_17swigluoai_and_mulIS2_EES3_S5_S5_ffEEEEvPS3_PS4_iff,@function
_ZN4vllm24swigluoai_and_mul_kernelIN3c108BFloat16ETnPFT_RKS3_S5_ffEXadL_ZNS_17swigluoai_and_mulIS2_EES3_S5_S5_ffEEEEvPS3_PS4_iff: ; @_ZN4vllm24swigluoai_and_mul_kernelIN3c108BFloat16ETnPFT_RKS3_S5_ffEXadL_ZNS_17swigluoai_and_mulIS2_EES3_S5_S5_ffEEEEvPS3_PS4_iff
; %bb.0:
	s_load_dwordx4 s[16:19], s[4:5], 0x10
	s_waitcnt lgkmcnt(0)
	v_cmp_gt_i32_e32 vcc, s16, v0
	s_and_saveexec_b64 s[0:1], vcc
	s_cbranch_execz .LBB17_12
; %bb.1:
	s_load_dword s0, s[4:5], 0x2c
	s_mov_b32 s14, s16
	s_ashr_i32 s15, s16, 31
	v_mov_b32_e32 v2, s15
	v_mov_b32_e32 v1, 0
	s_waitcnt lgkmcnt(0)
	s_and_b32 s19, s0, 0xffff
	v_add_co_u32_e32 v4, vcc, s19, v0
	v_addc_co_u32_e64 v5, s[0:1], 0, 0, vcc
	v_cmp_lt_i64_e32 vcc, s[14:15], v[4:5]
	v_cndmask_b32_e32 v6, v2, v5, vcc
	v_mov_b32_e32 v2, s16
	v_cndmask_b32_e32 v3, v2, v4, vcc
	v_cmp_gt_i64_e32 vcc, s[14:15], v[4:5]
	v_cndmask_b32_e64 v2, 0, 1, vcc
	v_add_co_u32_e32 v4, vcc, v4, v2
	v_addc_co_u32_e32 v5, vcc, 0, v5, vcc
	v_sub_co_u32_e32 v3, vcc, v3, v4
	v_subb_co_u32_e32 v5, vcc, v6, v5, vcc
	v_mov_b32_e32 v4, v1
	s_mov_b32 s33, 0
	v_cmp_ne_u64_e32 vcc, 0, v[4:5]
                                        ; implicit-def: $vgpr6_vgpr7
	s_and_saveexec_b64 s[0:1], vcc
	s_xor_b64 s[2:3], exec, s[0:1]
	s_cbranch_execz .LBB17_3
; %bb.2:
	v_cvt_f32_u32_e32 v4, s19
	v_mov_b32_e32 v6, 0x4f800000
	s_sub_u32 s0, 0, s19
	s_subb_u32 s1, 0, 0
	v_mac_f32_e32 v4, 0, v6
	v_rcp_f32_e32 v4, v4
	v_mul_f32_e32 v4, 0x5f7ffffc, v4
	v_mul_f32_e32 v6, 0x2f800000, v4
	v_trunc_f32_e32 v6, v6
	v_madmk_f32 v4, v6, 0xcf800000, v4
	v_cvt_u32_f32_e32 v6, v6
	v_cvt_u32_f32_e32 v4, v4
	v_mul_lo_u32 v7, s0, v6
	v_mul_hi_u32 v9, s0, v4
	v_mul_lo_u32 v8, s1, v4
	v_add_u32_e32 v7, v9, v7
	v_mul_lo_u32 v10, s0, v4
	v_add_u32_e32 v7, v7, v8
	v_mul_hi_u32 v9, v4, v10
	v_mul_lo_u32 v11, v4, v7
	v_mul_hi_u32 v8, v4, v7
	v_add_co_u32_e32 v9, vcc, v9, v11
	v_addc_co_u32_e32 v8, vcc, 0, v8, vcc
	v_mul_hi_u32 v12, v6, v10
	v_mul_lo_u32 v10, v6, v10
	v_add_co_u32_e32 v9, vcc, v9, v10
	v_mul_hi_u32 v11, v6, v7
	v_addc_co_u32_e32 v8, vcc, v8, v12, vcc
	v_addc_co_u32_e32 v9, vcc, 0, v11, vcc
	v_mul_lo_u32 v7, v6, v7
	v_add_co_u32_e32 v7, vcc, v8, v7
	v_addc_co_u32_e32 v8, vcc, 0, v9, vcc
	v_add_co_u32_e32 v4, vcc, v4, v7
	v_addc_co_u32_e32 v6, vcc, v6, v8, vcc
	v_mul_lo_u32 v7, s0, v6
	v_mul_hi_u32 v8, s0, v4
	v_add_u32_e32 v7, v8, v7
	v_mul_lo_u32 v8, s1, v4
	v_add_u32_e32 v7, v7, v8
	v_mul_lo_u32 v9, s0, v4
	v_mul_hi_u32 v10, v6, v9
	v_mul_lo_u32 v11, v6, v9
	v_mul_lo_u32 v13, v4, v7
	v_mul_hi_u32 v9, v4, v9
	v_mul_hi_u32 v12, v4, v7
	v_add_co_u32_e32 v9, vcc, v9, v13
	v_addc_co_u32_e32 v12, vcc, 0, v12, vcc
	v_add_co_u32_e32 v9, vcc, v9, v11
	v_mul_hi_u32 v8, v6, v7
	v_addc_co_u32_e32 v9, vcc, v12, v10, vcc
	v_addc_co_u32_e32 v8, vcc, 0, v8, vcc
	v_mul_lo_u32 v7, v6, v7
	v_add_co_u32_e32 v7, vcc, v9, v7
	v_addc_co_u32_e32 v8, vcc, 0, v8, vcc
	v_add_co_u32_e32 v4, vcc, v4, v7
	v_addc_co_u32_e32 v8, vcc, v6, v8, vcc
	v_mad_u64_u32 v[6:7], s[0:1], v3, v8, 0
	v_mul_hi_u32 v9, v3, v4
	v_add_co_u32_e32 v10, vcc, v9, v6
	v_addc_co_u32_e32 v11, vcc, 0, v7, vcc
	v_mad_u64_u32 v[6:7], s[0:1], v5, v8, 0
	v_mad_u64_u32 v[8:9], s[0:1], v5, v4, 0
	v_add_co_u32_e32 v4, vcc, v10, v8
	v_addc_co_u32_e32 v4, vcc, v11, v9, vcc
	v_addc_co_u32_e32 v7, vcc, 0, v7, vcc
	v_add_co_u32_e32 v10, vcc, v4, v6
	v_addc_co_u32_e32 v11, vcc, 0, v7, vcc
	v_mad_u64_u32 v[6:7], s[0:1], s19, v10, 0
	v_mov_b32_e32 v4, v7
	v_mad_u64_u32 v[8:9], s[0:1], s19, v11, v[4:5]
	v_sub_co_u32_e32 v3, vcc, v3, v6
	v_subb_co_u32_e32 v4, vcc, v5, v8, vcc
	v_subrev_co_u32_e32 v5, vcc, s19, v3
	v_subbrev_co_u32_e32 v6, vcc, 0, v4, vcc
	v_cmp_le_u32_e32 vcc, s19, v5
	v_cndmask_b32_e64 v5, 0, -1, vcc
	v_cmp_eq_u32_e32 vcc, 0, v6
	v_cndmask_b32_e32 v5, -1, v5, vcc
	v_add_co_u32_e32 v6, vcc, 2, v10
	v_addc_co_u32_e32 v7, vcc, 0, v11, vcc
	v_add_co_u32_e32 v8, vcc, 1, v10
	v_cmp_le_u32_e64 s[0:1], s19, v3
	v_addc_co_u32_e32 v9, vcc, 0, v11, vcc
	v_cndmask_b32_e64 v3, 0, -1, s[0:1]
	v_cmp_eq_u32_e64 s[0:1], 0, v4
	v_cmp_ne_u32_e32 vcc, 0, v5
	v_cndmask_b32_e64 v3, -1, v3, s[0:1]
	v_cndmask_b32_e32 v5, v9, v7, vcc
	v_cmp_ne_u32_e64 s[0:1], 0, v3
	v_cndmask_b32_e32 v3, v8, v6, vcc
	v_cndmask_b32_e64 v7, v11, v5, s[0:1]
	v_cndmask_b32_e64 v6, v10, v3, s[0:1]
                                        ; implicit-def: $vgpr3
.LBB17_3:
	s_or_saveexec_b64 s[0:1], s[2:3]
	s_load_dwordx4 s[20:23], s[4:5], 0x0
	s_xor_b64 exec, exec, s[0:1]
	s_cbranch_execz .LBB17_5
; %bb.4:
	v_cvt_f32_u32_e32 v4, s19
	s_sub_i32 s2, 0, s19
	v_mov_b32_e32 v7, 0
	v_rcp_iflag_f32_e32 v4, v4
	v_mul_f32_e32 v4, 0x4f7ffffe, v4
	v_cvt_u32_f32_e32 v4, v4
	v_mul_lo_u32 v5, s2, v4
	v_mul_hi_u32 v5, v4, v5
	v_add_u32_e32 v4, v4, v5
	v_mul_hi_u32 v4, v3, v4
	v_mul_lo_u32 v5, v4, s19
	v_sub_u32_e32 v3, v3, v5
	v_add_u32_e32 v6, 1, v4
	v_subrev_u32_e32 v5, s19, v3
	v_cmp_le_u32_e32 vcc, s19, v3
	v_cndmask_b32_e32 v3, v3, v5, vcc
	v_cndmask_b32_e32 v4, v4, v6, vcc
	v_add_u32_e32 v5, 1, v4
	v_cmp_le_u32_e32 vcc, s19, v3
	v_cndmask_b32_e32 v6, v4, v5, vcc
.LBB17_5:
	s_or_b64 exec, exec, s[0:1]
	v_add_co_u32_e32 v2, vcc, v6, v2
	v_addc_co_u32_e32 v3, vcc, 0, v7, vcc
	v_add_co_u32_e32 v10, vcc, 1, v2
	s_mul_i32 s0, s6, s15
	s_mul_hi_u32 s1, s6, s14
	v_addc_co_u32_e32 v11, vcc, 0, v3, vcc
	s_add_i32 s25, s1, s0
	v_cmp_lt_u64_e32 vcc, 3, v[10:11]
	v_cmp_eq_u16_e64 s[0:1], s19, 1
	s_mul_i32 s24, s6, s14
	s_and_b64 s[2:3], vcc, s[0:1]
	s_mov_b64 s[0:1], -1
	s_and_saveexec_b64 s[26:27], s[2:3]
	s_cbranch_execz .LBB17_9
; %bb.6:
	s_lshl_b64 s[0:1], s[24:25], 1
	s_waitcnt lgkmcnt(0)
	s_add_u32 s2, s20, s0
	s_addc_u32 s3, s21, s1
	v_lshlrev_b32_e32 v8, 1, v0
	v_mad_u64_u32 v[6:7], s[0:1], s19, 3, v[0:1]
	v_mad_u64_u32 v[4:5], s[0:1], s19, 2, v[0:1]
	v_mad_u64_u32 v[2:3], s[0:1], s19, 1, v[0:1]
	v_mov_b32_e32 v9, s3
	v_add_co_u32_e32 v14, vcc, s2, v8
	v_and_b32_e32 v12, -4, v10
	v_mov_b32_e32 v13, v11
	s_xor_b32 s42, s18, 0x80000000
	s_mov_b32 s5, 0
	v_addc_co_u32_e32 v15, vcc, 0, v9, vcc
	v_pk_mov_b32 v[8:9], v[6:7], v[6:7] op_sel:[0,1]
	s_mov_b32 s16, s24
	s_mov_b32 s36, s24
	;; [unrolled: 1-line block ×14, first 2 shown]
	s_lshl_b32 s46, s19, 3
	s_mov_b64 s[34:35], 0
	v_mov_b32_e32 v18, s25
	v_mov_b32_e32 v19, s25
	;; [unrolled: 1-line block ×12, first 2 shown]
	s_mov_b32 s47, 0x3fb8aa3b
	s_mov_b32 s48, 0xc2ce8ed0
	;; [unrolled: 1-line block ×3, first 2 shown]
	v_mov_b32_e32 v30, 0x7f800000
	s_movk_i32 s50, 0x7fff
	v_mov_b32_e32 v31, 0x7fc0
	s_mov_b32 s51, 0x5040100
	v_mov_b32_e32 v32, s5
	v_mov_b32_e32 v33, s25
	v_pk_mov_b32 v[16:17], v[12:13], v[12:13] op_sel:[0,1]
	v_pk_mov_b32 v[6:7], v[4:5], v[4:5] op_sel:[0,1]
	;; [unrolled: 1-line block ×4, first 2 shown]
.LBB17_7:                               ; =>This Inner Loop Header: Depth=1
	v_add_co_u32_e32 v34, vcc, s37, v8
	v_addc_co_u32_e32 v35, vcc, v9, v18, vcc
	v_add_co_u32_e32 v36, vcc, s36, v6
	v_addc_co_u32_e32 v37, vcc, v7, v19, vcc
	;; [unrolled: 2-line block ×4, first 2 shown]
	v_lshlrev_b64 v[42:43], 1, v[40:41]
	v_lshlrev_b64 v[40:41], 2, v[40:41]
	v_add_co_u32_e32 v40, vcc, s22, v40
	v_lshlrev_b64 v[44:45], 1, v[38:39]
	v_addc_co_u32_e32 v41, vcc, v21, v41, vcc
	v_lshlrev_b64 v[38:39], 2, v[38:39]
	v_add_co_u32_e32 v38, vcc, s22, v38
	v_lshlrev_b64 v[46:47], 1, v[36:37]
	v_addc_co_u32_e32 v39, vcc, v21, v39, vcc
	;; [unrolled: 4-line block ×3, first 2 shown]
	v_lshlrev_b64 v[34:35], 2, v[34:35]
	v_add_co_u32_e32 v34, vcc, s22, v34
	v_or_b32_e32 v42, 1, v42
	v_addc_co_u32_e32 v35, vcc, v21, v35, vcc
	v_lshlrev_b64 v[42:43], 1, v[42:43]
	v_or_b32_e32 v44, 1, v44
	v_add_co_u32_e32 v42, vcc, s22, v42
	v_addc_co_u32_e32 v43, vcc, v21, v43, vcc
	v_lshlrev_b64 v[44:45], 1, v[44:45]
	v_or_b32_e32 v46, 1, v46
	v_add_co_u32_e32 v44, vcc, s22, v44
	v_addc_co_u32_e32 v45, vcc, v21, v45, vcc
	v_lshlrev_b64 v[46:47], 1, v[46:47]
	v_or_b32_e32 v48, 1, v48
	v_add_co_u32_e32 v46, vcc, s22, v46
	v_addc_co_u32_e32 v47, vcc, v21, v47, vcc
	v_lshlrev_b64 v[48:49], 1, v[48:49]
	v_add_co_u32_e32 v48, vcc, s22, v48
	v_addc_co_u32_e32 v49, vcc, v21, v49, vcc
	global_load_ushort v50, v[34:35], off
	global_load_ushort v51, v[36:37], off
	;; [unrolled: 1-line block ×4, first 2 shown]
	s_nop 0
	global_load_ushort v34, v[42:43], off
	global_load_ushort v35, v[44:45], off
	;; [unrolled: 1-line block ×4, first 2 shown]
	s_waitcnt vmcnt(7)
	v_lshlrev_b32_e32 v41, 16, v50
	s_waitcnt vmcnt(3)
	v_lshlrev_b32_e32 v34, 16, v34
	;; [unrolled: 2-line block ×5, first 2 shown]
	v_cmp_gt_f32_e64 s[10:11], s43, v35
	v_cmp_gt_f32_e64 s[12:13], s42, v34
	v_lshlrev_b32_e32 v40, 16, v51
	v_cmp_lt_f32_e32 vcc, s38, v34
	v_cmp_lt_f32_e64 s[0:1], s39, v35
	v_cmp_gt_f32_e64 s[6:7], s45, v37
	v_cmp_gt_f32_e64 s[8:9], s44, v36
	v_cndmask_b32_e64 v42, v34, v22, s[12:13]
	v_cndmask_b32_e64 v43, v35, v23, s[10:11]
	v_cmp_lt_f32_e64 s[2:3], s40, v36
	v_cmp_lt_f32_e64 s[4:5], s41, v37
	v_cndmask_b32_e64 v34, v36, v24, s[8:9]
	v_cndmask_b32_e64 v35, v37, v25, s[6:7]
	v_cndmask_b32_e64 v37, v43, v28, s[0:1]
	v_cndmask_b32_e32 v36, v42, v29, vcc
	v_cmp_lt_f32_e32 vcc, s41, v41
	v_cmp_lt_f32_e64 s[0:1], s40, v40
	v_cndmask_b32_e64 v40, v40, v27, s[0:1]
	v_cndmask_b32_e32 v41, v41, v26, vcc
	v_xor_b32_e32 v43, 0x80000000, v41
	v_xor_b32_e32 v42, 0x80000000, v40
	v_pk_mul_f32 v[42:43], s[30:31], v[42:43]
	v_mul_f32_e32 v46, 0x3fb8aa3b, v43
	v_fma_f32 v47, v43, s47, -v46
	v_rndne_f32_e32 v48, v46
	v_fmac_f32_e32 v47, 0x32a5705f, v43
	v_sub_f32_e32 v46, v46, v48
	v_add_f32_e32 v46, v46, v47
	v_exp_f32_e32 v46, v46
	v_cvt_i32_f32_e32 v47, v48
	v_cmp_ngt_f32_e32 vcc, s48, v43
	v_lshlrev_b32_e32 v38, 16, v53
	v_lshlrev_b32_e32 v39, 16, v52
	v_ldexp_f32 v46, v46, v47
	v_cndmask_b32_e32 v46, 0, v46, vcc
	v_cmp_nlt_f32_e32 vcc, s49, v43
	v_cndmask_b32_e32 v43, v30, v46, vcc
	v_mul_f32_e32 v46, 0x3fb8aa3b, v42
	v_fma_f32 v47, v42, s47, -v46
	v_rndne_f32_e32 v48, v46
	v_fmac_f32_e32 v47, 0x32a5705f, v42
	v_sub_f32_e32 v46, v46, v48
	v_add_f32_e32 v46, v46, v47
	v_exp_f32_e32 v46, v46
	v_cvt_i32_f32_e32 v47, v48
	v_cndmask_b32_e64 v35, v35, v26, s[4:5]
	v_cndmask_b32_e64 v34, v34, v27, s[2:3]
	v_cmp_lt_f32_e64 s[2:3], s39, v39
	v_cmp_lt_f32_e64 s[4:5], s38, v38
	v_cndmask_b32_e64 v38, v38, v29, s[4:5]
	v_cndmask_b32_e64 v39, v39, v28, s[2:3]
	v_xor_b32_e32 v45, 0x80000000, v39
	v_xor_b32_e32 v44, 0x80000000, v38
	v_ldexp_f32 v46, v46, v47
	v_cmp_ngt_f32_e32 vcc, s48, v42
	v_pk_mul_f32 v[44:45], s[28:29], v[44:45]
	v_cndmask_b32_e32 v46, 0, v46, vcc
	v_cmp_nlt_f32_e32 vcc, s49, v42
	v_cndmask_b32_e32 v42, v30, v46, vcc
	v_mul_f32_e32 v46, 0x3fb8aa3b, v45
	v_fma_f32 v47, v45, s47, -v46
	v_rndne_f32_e32 v48, v46
	v_fmac_f32_e32 v47, 0x32a5705f, v45
	v_sub_f32_e32 v46, v46, v48
	v_add_f32_e32 v46, v46, v47
	v_exp_f32_e32 v46, v46
	v_cvt_i32_f32_e32 v47, v48
	v_cmp_ngt_f32_e32 vcc, s48, v45
	v_pk_add_f32 v[42:43], v[42:43], 1.0 op_sel_hi:[1,0]
	v_pk_add_f32 v[34:35], v[34:35], 1.0 op_sel_hi:[1,0]
	v_ldexp_f32 v46, v46, v47
	v_cndmask_b32_e32 v46, 0, v46, vcc
	v_cmp_nlt_f32_e32 vcc, s49, v45
	v_cndmask_b32_e32 v45, v30, v46, vcc
	v_mul_f32_e32 v46, 0x3fb8aa3b, v44
	v_fma_f32 v47, v44, s47, -v46
	v_rndne_f32_e32 v48, v46
	v_fmac_f32_e32 v47, 0x32a5705f, v44
	v_sub_f32_e32 v46, v46, v48
	v_add_f32_e32 v46, v46, v47
	v_exp_f32_e32 v46, v46
	v_cvt_i32_f32_e32 v47, v48
	v_cmp_ngt_f32_e32 vcc, s48, v44
	v_pk_add_f32 v[36:37], v[36:37], 1.0 op_sel_hi:[1,0]
	v_ldexp_f32 v46, v46, v47
	v_cndmask_b32_e32 v46, 0, v46, vcc
	v_cmp_nlt_f32_e32 vcc, s49, v44
	v_cndmask_b32_e32 v44, v30, v46, vcc
	v_div_scale_f32 v46, s[0:1], v43, v43, 1.0
	v_rcp_f32_e32 v47, v46
	v_pk_add_f32 v[44:45], v[44:45], 1.0 op_sel_hi:[1,0]
	v_fma_f32 v48, -v46, v47, 1.0
	v_fmac_f32_e32 v47, v48, v47
	v_div_scale_f32 v48, vcc, 1.0, v43, 1.0
	v_mul_f32_e32 v49, v48, v47
	v_fma_f32 v50, -v46, v49, v48
	v_fmac_f32_e32 v49, v50, v47
	v_fma_f32 v46, -v46, v49, v48
	v_div_fmas_f32 v46, v46, v47, v49
	v_div_fixup_f32 v43, v46, v43, 1.0
	v_div_scale_f32 v46, s[0:1], v42, v42, 1.0
	v_rcp_f32_e32 v47, v46
	v_fma_f32 v48, -v46, v47, 1.0
	v_fmac_f32_e32 v47, v48, v47
	v_div_scale_f32 v48, vcc, 1.0, v42, 1.0
	v_mul_f32_e32 v49, v48, v47
	v_fma_f32 v50, -v46, v49, v48
	v_fmac_f32_e32 v49, v50, v47
	v_fma_f32 v46, -v46, v49, v48
	v_div_fmas_f32 v46, v46, v47, v49
	v_div_fixup_f32 v42, v46, v42, 1.0
	v_div_scale_f32 v46, s[0:1], v45, v45, 1.0
	v_rcp_f32_e32 v47, v46
	v_pk_mul_f32 v[40:41], v[40:41], v[42:43]
	v_pk_mul_f32 v[34:35], v[34:35], v[40:41]
	v_fma_f32 v48, -v46, v47, 1.0
	v_fmac_f32_e32 v47, v48, v47
	v_div_scale_f32 v48, vcc, 1.0, v45, 1.0
	v_mul_f32_e32 v49, v48, v47
	v_fma_f32 v50, -v46, v49, v48
	v_fmac_f32_e32 v49, v50, v47
	v_fma_f32 v46, -v46, v49, v48
	v_div_fmas_f32 v46, v46, v47, v49
	v_div_fixup_f32 v45, v46, v45, 1.0
	v_div_scale_f32 v46, s[0:1], v44, v44, 1.0
	v_rcp_f32_e32 v47, v46
	v_fma_f32 v48, -v46, v47, 1.0
	v_fmac_f32_e32 v47, v48, v47
	v_div_scale_f32 v48, vcc, 1.0, v44, 1.0
	v_mul_f32_e32 v49, v48, v47
	v_fma_f32 v50, -v46, v49, v48
	v_fmac_f32_e32 v49, v50, v47
	v_fma_f32 v46, -v46, v49, v48
	v_div_fmas_f32 v46, v46, v47, v49
	v_div_fixup_f32 v44, v46, v44, 1.0
	v_pk_mul_f32 v[38:39], v[38:39], v[44:45]
	v_pk_mul_f32 v[36:37], v[36:37], v[38:39]
	v_bfe_u32 v38, v34, 16, 1
	v_bfe_u32 v39, v35, 16, 1
	v_add3_u32 v38, v34, v38, s50
	v_bfe_u32 v40, v36, 16, 1
	v_add3_u32 v39, v35, v39, s50
	v_lshrrev_b32_e32 v38, 16, v38
	v_cmp_o_f32_e32 vcc, v34, v34
	v_bfe_u32 v41, v37, 16, 1
	v_add3_u32 v40, v36, v40, s50
	v_lshrrev_b32_e32 v39, 16, v39
	v_cndmask_b32_e32 v34, v31, v38, vcc
	v_cmp_o_f32_e32 vcc, v35, v35
	v_add3_u32 v41, v37, v41, s50
	v_lshrrev_b32_e32 v40, 16, v40
	v_cndmask_b32_e32 v35, v31, v39, vcc
	v_cmp_o_f32_e32 vcc, v36, v36
	v_lshrrev_b32_e32 v41, 16, v41
	v_perm_b32 v35, v35, v34, s51
	v_cndmask_b32_e32 v34, v31, v40, vcc
	v_cmp_o_f32_e32 vcc, v37, v37
	v_cndmask_b32_e32 v36, v31, v41, vcc
	v_add_co_u32_e32 v8, vcc, 4, v8
	v_addc_co_u32_e32 v9, vcc, 0, v9, vcc
	v_add_co_u32_e32 v6, vcc, 4, v6
	v_addc_co_u32_e32 v7, vcc, 0, v7, vcc
	;; [unrolled: 2-line block ×4, first 2 shown]
	v_add_co_u32_e32 v16, vcc, -4, v16
	v_perm_b32 v34, v36, v34, s51
	v_addc_co_u32_e32 v17, vcc, -1, v17, vcc
	global_store_dwordx2 v[14:15], v[34:35], off
	v_add_co_u32_e32 v14, vcc, s46, v14
	v_addc_co_u32_e32 v15, vcc, v15, v32, vcc
	v_cmp_eq_u64_e32 vcc, 0, v[16:17]
	s_or_b64 s[34:35], vcc, s[34:35]
	s_andn2_b64 exec, exec, s[34:35]
	s_cbranch_execnz .LBB17_7
; %bb.8:
	s_or_b64 exec, exec, s[34:35]
	v_mad_u64_u32 v[0:1], s[0:1], v12, s19, v[0:1]
	v_mov_b32_e32 v2, v1
	v_mad_u64_u32 v[2:3], s[0:1], v13, s19, v[2:3]
	v_cmp_ne_u64_e32 vcc, v[10:11], v[12:13]
	v_mov_b32_e32 v1, v2
	s_orn2_b64 s[0:1], vcc, exec
.LBB17_9:
	s_or_b64 exec, exec, s[26:27]
	s_and_b64 exec, exec, s[0:1]
	s_cbranch_execz .LBB17_12
; %bb.10:
	v_mov_b32_e32 v3, s25
	v_add_co_u32_e32 v2, vcc, s24, v0
	v_addc_co_u32_e32 v3, vcc, v1, v3, vcc
	v_lshlrev_b64 v[2:3], 2, v[2:3]
	s_waitcnt lgkmcnt(0)
	v_mov_b32_e32 v4, s23
	v_add_co_u32_e32 v2, vcc, s22, v2
	v_addc_co_u32_e32 v3, vcc, v3, v4, vcc
	s_lshl_b32 s2, s19, 2
	s_lshl_b64 s[0:1], s[24:25], 1
	v_add_co_u32_e32 v2, vcc, 2, v2
	s_add_u32 s0, s20, s0
	v_addc_co_u32_e32 v3, vcc, 0, v3, vcc
	v_lshlrev_b64 v[4:5], 1, v[0:1]
	s_addc_u32 s1, s21, s1
	s_mov_b32 s8, 0
	v_mov_b32_e32 v6, s1
	v_add_co_u32_e32 v4, vcc, s0, v4
	v_addc_co_u32_e32 v5, vcc, v6, v5, vcc
	s_lshl_b32 s3, s19, 1
	s_mov_b64 s[0:1], 0
	v_mov_b32_e32 v6, s18
	s_mov_b32 s4, 0x3fb8aa3b
	s_mov_b32 s5, 0xc2ce8ed0
	;; [unrolled: 1-line block ×3, first 2 shown]
	v_mov_b32_e32 v7, 0x7f800000
	s_movk_i32 s7, 0x7fff
	v_mov_b32_e32 v8, 0x7fc0
	v_mov_b32_e32 v9, s33
	v_mov_b32_e32 v10, s8
	v_mov_b32_e32 v11, s8
.LBB17_11:                              ; =>This Inner Loop Header: Depth=1
	global_load_dword v12, v[2:3], off offset:-2
	v_add_co_u32_e32 v0, vcc, s19, v0
	v_addc_co_u32_e32 v1, vcc, v1, v9, vcc
	v_add_co_u32_e32 v2, vcc, s2, v2
	v_addc_co_u32_e32 v3, vcc, v3, v10, vcc
	v_cmp_le_i64_e32 vcc, s[14:15], v[0:1]
	s_or_b64 s[0:1], vcc, s[0:1]
	s_waitcnt vmcnt(0)
	v_lshlrev_b32_e32 v13, 16, v12
	v_and_b32_e32 v12, 0xffff0000, v12
	v_cmp_lt_f32_e64 s[8:9], v12, -s18
	v_cmp_lt_f32_e32 vcc, s18, v13
	v_cndmask_b32_e64 v14, v12, -v6, s[8:9]
	v_cndmask_b32_e32 v13, v13, v6, vcc
	v_cmp_lt_f32_e32 vcc, s18, v12
	v_cndmask_b32_e32 v12, v14, v6, vcc
	v_mul_f32_e64 v14, -v13, s17
	v_mul_f32_e32 v15, 0x3fb8aa3b, v14
	v_fma_f32 v16, v14, s4, -v15
	v_rndne_f32_e32 v17, v15
	v_fmac_f32_e32 v16, 0x32a5705f, v14
	v_sub_f32_e32 v15, v15, v17
	v_add_f32_e32 v15, v15, v16
	v_cvt_i32_f32_e32 v17, v17
	v_exp_f32_e32 v15, v15
	v_cmp_ngt_f32_e32 vcc, s5, v14
	v_add_f32_e32 v12, 1.0, v12
	v_ldexp_f32 v15, v15, v17
	v_cndmask_b32_e32 v15, 0, v15, vcc
	v_cmp_nlt_f32_e32 vcc, s6, v14
	v_cndmask_b32_e32 v14, v7, v15, vcc
	v_add_f32_e32 v14, 1.0, v14
	v_div_scale_f32 v15, s[8:9], v14, v14, 1.0
	v_rcp_f32_e32 v17, v15
	v_div_scale_f32 v16, vcc, 1.0, v14, 1.0
	v_fma_f32 v18, -v15, v17, 1.0
	v_fmac_f32_e32 v17, v18, v17
	v_mul_f32_e32 v18, v16, v17
	v_fma_f32 v19, -v15, v18, v16
	v_fmac_f32_e32 v18, v19, v17
	v_fma_f32 v15, -v15, v18, v16
	v_div_fmas_f32 v15, v15, v17, v18
	v_div_fixup_f32 v14, v15, v14, 1.0
	v_mul_f32_e32 v13, v13, v14
	v_mul_f32_e32 v12, v12, v13
	v_bfe_u32 v13, v12, 16, 1
	v_add3_u32 v13, v12, v13, s7
	v_lshrrev_b32_e32 v13, 16, v13
	v_cmp_o_f32_e32 vcc, v12, v12
	v_cndmask_b32_e32 v12, v8, v13, vcc
	global_store_short v[4:5], v12, off
	v_add_co_u32_e32 v4, vcc, s3, v4
	v_addc_co_u32_e32 v5, vcc, v5, v11, vcc
	s_andn2_b64 exec, exec, s[0:1]
	s_cbranch_execnz .LBB17_11
.LBB17_12:
	s_endpgm
	.section	.rodata,"a",@progbits
	.p2align	6, 0x0
	.amdhsa_kernel _ZN4vllm24swigluoai_and_mul_kernelIN3c108BFloat16ETnPFT_RKS3_S5_ffEXadL_ZNS_17swigluoai_and_mulIS2_EES3_S5_S5_ffEEEEvPS3_PS4_iff
		.amdhsa_group_segment_fixed_size 0
		.amdhsa_private_segment_fixed_size 0
		.amdhsa_kernarg_size 288
		.amdhsa_user_sgpr_count 6
		.amdhsa_user_sgpr_private_segment_buffer 1
		.amdhsa_user_sgpr_dispatch_ptr 0
		.amdhsa_user_sgpr_queue_ptr 0
		.amdhsa_user_sgpr_kernarg_segment_ptr 1
		.amdhsa_user_sgpr_dispatch_id 0
		.amdhsa_user_sgpr_flat_scratch_init 0
		.amdhsa_user_sgpr_kernarg_preload_length 0
		.amdhsa_user_sgpr_kernarg_preload_offset 0
		.amdhsa_user_sgpr_private_segment_size 0
		.amdhsa_uses_dynamic_stack 0
		.amdhsa_system_sgpr_private_segment_wavefront_offset 0
		.amdhsa_system_sgpr_workgroup_id_x 1
		.amdhsa_system_sgpr_workgroup_id_y 0
		.amdhsa_system_sgpr_workgroup_id_z 0
		.amdhsa_system_sgpr_workgroup_info 0
		.amdhsa_system_vgpr_workitem_id 0
		.amdhsa_next_free_vgpr 54
		.amdhsa_next_free_sgpr 52
		.amdhsa_accum_offset 56
		.amdhsa_reserve_vcc 1
		.amdhsa_reserve_flat_scratch 0
		.amdhsa_float_round_mode_32 0
		.amdhsa_float_round_mode_16_64 0
		.amdhsa_float_denorm_mode_32 3
		.amdhsa_float_denorm_mode_16_64 3
		.amdhsa_dx10_clamp 1
		.amdhsa_ieee_mode 1
		.amdhsa_fp16_overflow 0
		.amdhsa_tg_split 0
		.amdhsa_exception_fp_ieee_invalid_op 0
		.amdhsa_exception_fp_denorm_src 0
		.amdhsa_exception_fp_ieee_div_zero 0
		.amdhsa_exception_fp_ieee_overflow 0
		.amdhsa_exception_fp_ieee_underflow 0
		.amdhsa_exception_fp_ieee_inexact 0
		.amdhsa_exception_int_div_zero 0
	.end_amdhsa_kernel
	.section	.text._ZN4vllm24swigluoai_and_mul_kernelIN3c108BFloat16ETnPFT_RKS3_S5_ffEXadL_ZNS_17swigluoai_and_mulIS2_EES3_S5_S5_ffEEEEvPS3_PS4_iff,"axG",@progbits,_ZN4vllm24swigluoai_and_mul_kernelIN3c108BFloat16ETnPFT_RKS3_S5_ffEXadL_ZNS_17swigluoai_and_mulIS2_EES3_S5_S5_ffEEEEvPS3_PS4_iff,comdat
.Lfunc_end17:
	.size	_ZN4vllm24swigluoai_and_mul_kernelIN3c108BFloat16ETnPFT_RKS3_S5_ffEXadL_ZNS_17swigluoai_and_mulIS2_EES3_S5_S5_ffEEEEvPS3_PS4_iff, .Lfunc_end17-_ZN4vllm24swigluoai_and_mul_kernelIN3c108BFloat16ETnPFT_RKS3_S5_ffEXadL_ZNS_17swigluoai_and_mulIS2_EES3_S5_S5_ffEEEEvPS3_PS4_iff
                                        ; -- End function
	.section	.AMDGPU.csdata,"",@progbits
; Kernel info:
; codeLenInByte = 3020
; NumSgprs: 56
; NumVgprs: 54
; NumAgprs: 0
; TotalNumVgprs: 54
; ScratchSize: 0
; MemoryBound: 0
; FloatMode: 240
; IeeeMode: 1
; LDSByteSize: 0 bytes/workgroup (compile time only)
; SGPRBlocks: 6
; VGPRBlocks: 6
; NumSGPRsForWavesPerEU: 56
; NumVGPRsForWavesPerEU: 54
; AccumOffset: 56
; Occupancy: 8
; WaveLimiterHint : 0
; COMPUTE_PGM_RSRC2:SCRATCH_EN: 0
; COMPUTE_PGM_RSRC2:USER_SGPR: 6
; COMPUTE_PGM_RSRC2:TRAP_HANDLER: 0
; COMPUTE_PGM_RSRC2:TGID_X_EN: 1
; COMPUTE_PGM_RSRC2:TGID_Y_EN: 0
; COMPUTE_PGM_RSRC2:TGID_Z_EN: 0
; COMPUTE_PGM_RSRC2:TIDIG_COMP_CNT: 0
; COMPUTE_PGM_RSRC3_GFX90A:ACCUM_OFFSET: 13
; COMPUTE_PGM_RSRC3_GFX90A:TG_SPLIT: 0
	.section	.text._ZN4vllm17activation_kernelIfTnPFT_RKS1_EXadL_ZNS_15gelu_new_kernelIfEES1_S3_EEEEvPS1_PS2_i,"axG",@progbits,_ZN4vllm17activation_kernelIfTnPFT_RKS1_EXadL_ZNS_15gelu_new_kernelIfEES1_S3_EEEEvPS1_PS2_i,comdat
	.protected	_ZN4vllm17activation_kernelIfTnPFT_RKS1_EXadL_ZNS_15gelu_new_kernelIfEES1_S3_EEEEvPS1_PS2_i ; -- Begin function _ZN4vllm17activation_kernelIfTnPFT_RKS1_EXadL_ZNS_15gelu_new_kernelIfEES1_S3_EEEEvPS1_PS2_i
	.globl	_ZN4vllm17activation_kernelIfTnPFT_RKS1_EXadL_ZNS_15gelu_new_kernelIfEES1_S3_EEEEvPS1_PS2_i
	.p2align	8
	.type	_ZN4vllm17activation_kernelIfTnPFT_RKS1_EXadL_ZNS_15gelu_new_kernelIfEES1_S3_EEEEvPS1_PS2_i,@function
_ZN4vllm17activation_kernelIfTnPFT_RKS1_EXadL_ZNS_15gelu_new_kernelIfEES1_S3_EEEEvPS1_PS2_i: ; @_ZN4vllm17activation_kernelIfTnPFT_RKS1_EXadL_ZNS_15gelu_new_kernelIfEES1_S3_EEEEvPS1_PS2_i
; %bb.0:
	s_load_dword s8, s[4:5], 0x10
	s_waitcnt lgkmcnt(0)
	v_cmp_gt_i32_e32 vcc, s8, v0
	s_and_saveexec_b64 s[0:1], vcc
	s_cbranch_execz .LBB18_7
; %bb.1:
	s_load_dword s7, s[4:5], 0x24
	s_load_dwordx4 s[0:3], s[4:5], 0x0
	s_ashr_i32 s9, s8, 31
	v_mov_b32_e32 v1, 0
	v_mov_b32_e32 v2, s6
	s_waitcnt lgkmcnt(0)
	s_and_b32 s10, s7, 0xffff
	s_mul_i32 s7, s9, s6
	v_mad_u64_u32 v[2:3], s[4:5], s8, v2, v[0:1]
	s_mov_b32 s16, 0
	v_add_u32_e32 v3, s7, v3
	v_lshlrev_b64 v[2:3], 2, v[2:3]
	s_lshl_b32 s11, s10, 2
	s_mov_b64 s[4:5], 0
	v_mov_b32_e32 v4, s3
	s_mov_b32 s3, 0x3f200000
	s_mov_b32 s12, 0x3fb8aa3b
	;; [unrolled: 1-line block ×4, first 2 shown]
	v_mov_b32_e32 v5, 0xbd5c1c4e
	v_mov_b32_e32 v6, 0x3e088382
	;; [unrolled: 1-line block ×3, first 2 shown]
	s_brev_b32 s15, -2
	v_mov_b32_e32 v8, s1
	v_mov_b32_e32 v9, s16
	;; [unrolled: 1-line block ×4, first 2 shown]
	s_branch .LBB18_3
.LBB18_2:                               ;   in Loop: Header=BB18_3 Depth=1
	s_or_b64 exec, exec, s[6:7]
	v_bfi_b32 v13, s15, v14, v13
	v_mul_f32_e32 v12, 0.5, v12
	v_add_f32_e32 v13, 1.0, v13
	v_mul_f32_e32 v14, v12, v13
	v_add_co_u32_e32 v12, vcc, s0, v2
	v_addc_co_u32_e32 v13, vcc, v8, v3, vcc
	v_add_co_u32_e32 v0, vcc, s10, v0
	v_addc_co_u32_e32 v1, vcc, v1, v9, vcc
	v_cmp_le_i64_e32 vcc, s[8:9], v[0:1]
	s_or_b64 s[4:5], vcc, s[4:5]
	v_add_co_u32_e32 v2, vcc, s11, v2
	v_addc_co_u32_e32 v3, vcc, v3, v10, vcc
	global_store_dword v[12:13], v14, off
	s_andn2_b64 exec, exec, s[4:5]
	s_cbranch_execz .LBB18_7
.LBB18_3:                               ; =>This Inner Loop Header: Depth=1
	v_add_co_u32_e32 v12, vcc, s2, v2
	v_addc_co_u32_e32 v13, vcc, v4, v3, vcc
	global_load_dword v12, v[12:13], off
	s_waitcnt vmcnt(0)
	v_mul_f32_e32 v13, v12, v12
	v_mul_f32_e32 v13, v12, v13
	v_mov_b32_e32 v14, v12
	v_fmac_f32_e32 v14, 0x3d372713, v13
	v_mul_f32_e32 v13, 0x3f4c422a, v14
	v_cmp_nlt_f32_e64 s[6:7], |v13|, s3
                                        ; implicit-def: $vgpr14
	s_and_saveexec_b64 s[16:17], s[6:7]
	s_xor_b64 s[6:7], exec, s[16:17]
	s_cbranch_execz .LBB18_5
; %bb.4:                                ;   in Loop: Header=BB18_3 Depth=1
	v_add_f32_e64 v14, |v13|, |v13|
	v_mul_f32_e32 v15, 0x3fb8aa3b, v14
	v_rndne_f32_e32 v16, v15
	v_sub_f32_e32 v17, v15, v16
	v_fma_f32 v15, v14, s12, -v15
	v_fmac_f32_e32 v15, 0x32a5705f, v14
	v_add_f32_e32 v15, v17, v15
	v_cvt_i32_f32_e32 v16, v16
	v_exp_f32_e32 v15, v15
	v_cmp_ngt_f32_e32 vcc, s13, v14
	v_ldexp_f32 v15, v15, v16
	v_cndmask_b32_e32 v15, 0, v15, vcc
	v_cmp_nlt_f32_e32 vcc, s14, v14
	v_cndmask_b32_e32 v14, v11, v15, vcc
	v_add_f32_e32 v14, 1.0, v14
	v_rcp_f32_e32 v14, v14
	v_fma_f32 v14, v14, -2.0, 1.0
.LBB18_5:                               ;   in Loop: Header=BB18_3 Depth=1
	s_andn2_saveexec_b64 s[6:7], s[6:7]
	s_cbranch_execz .LBB18_2
; %bb.6:                                ;   in Loop: Header=BB18_3 Depth=1
	v_mul_f32_e32 v14, v13, v13
	v_mov_b32_e32 v15, 0x3ca908c9
	v_fmac_f32_e32 v15, 0xbbbac73d, v14
	v_fma_f32 v15, v14, v15, v5
	v_fma_f32 v15, v14, v15, v6
	v_fma_f32 v15, v14, v15, v7
	v_mul_f32_e64 v15, |v13|, v15
	v_fma_f32 v14, v14, v15, |v13|
	s_branch .LBB18_2
.LBB18_7:
	s_endpgm
	.section	.rodata,"a",@progbits
	.p2align	6, 0x0
	.amdhsa_kernel _ZN4vllm17activation_kernelIfTnPFT_RKS1_EXadL_ZNS_15gelu_new_kernelIfEES1_S3_EEEEvPS1_PS2_i
		.amdhsa_group_segment_fixed_size 0
		.amdhsa_private_segment_fixed_size 0
		.amdhsa_kernarg_size 280
		.amdhsa_user_sgpr_count 6
		.amdhsa_user_sgpr_private_segment_buffer 1
		.amdhsa_user_sgpr_dispatch_ptr 0
		.amdhsa_user_sgpr_queue_ptr 0
		.amdhsa_user_sgpr_kernarg_segment_ptr 1
		.amdhsa_user_sgpr_dispatch_id 0
		.amdhsa_user_sgpr_flat_scratch_init 0
		.amdhsa_user_sgpr_kernarg_preload_length 0
		.amdhsa_user_sgpr_kernarg_preload_offset 0
		.amdhsa_user_sgpr_private_segment_size 0
		.amdhsa_uses_dynamic_stack 0
		.amdhsa_system_sgpr_private_segment_wavefront_offset 0
		.amdhsa_system_sgpr_workgroup_id_x 1
		.amdhsa_system_sgpr_workgroup_id_y 0
		.amdhsa_system_sgpr_workgroup_id_z 0
		.amdhsa_system_sgpr_workgroup_info 0
		.amdhsa_system_vgpr_workitem_id 0
		.amdhsa_next_free_vgpr 18
		.amdhsa_next_free_sgpr 18
		.amdhsa_accum_offset 20
		.amdhsa_reserve_vcc 1
		.amdhsa_reserve_flat_scratch 0
		.amdhsa_float_round_mode_32 0
		.amdhsa_float_round_mode_16_64 0
		.amdhsa_float_denorm_mode_32 3
		.amdhsa_float_denorm_mode_16_64 3
		.amdhsa_dx10_clamp 1
		.amdhsa_ieee_mode 1
		.amdhsa_fp16_overflow 0
		.amdhsa_tg_split 0
		.amdhsa_exception_fp_ieee_invalid_op 0
		.amdhsa_exception_fp_denorm_src 0
		.amdhsa_exception_fp_ieee_div_zero 0
		.amdhsa_exception_fp_ieee_overflow 0
		.amdhsa_exception_fp_ieee_underflow 0
		.amdhsa_exception_fp_ieee_inexact 0
		.amdhsa_exception_int_div_zero 0
	.end_amdhsa_kernel
	.section	.text._ZN4vllm17activation_kernelIfTnPFT_RKS1_EXadL_ZNS_15gelu_new_kernelIfEES1_S3_EEEEvPS1_PS2_i,"axG",@progbits,_ZN4vllm17activation_kernelIfTnPFT_RKS1_EXadL_ZNS_15gelu_new_kernelIfEES1_S3_EEEEvPS1_PS2_i,comdat
.Lfunc_end18:
	.size	_ZN4vllm17activation_kernelIfTnPFT_RKS1_EXadL_ZNS_15gelu_new_kernelIfEES1_S3_EEEEvPS1_PS2_i, .Lfunc_end18-_ZN4vllm17activation_kernelIfTnPFT_RKS1_EXadL_ZNS_15gelu_new_kernelIfEES1_S3_EEEEvPS1_PS2_i
                                        ; -- End function
	.section	.AMDGPU.csdata,"",@progbits
; Kernel info:
; codeLenInByte = 496
; NumSgprs: 22
; NumVgprs: 18
; NumAgprs: 0
; TotalNumVgprs: 18
; ScratchSize: 0
; MemoryBound: 0
; FloatMode: 240
; IeeeMode: 1
; LDSByteSize: 0 bytes/workgroup (compile time only)
; SGPRBlocks: 2
; VGPRBlocks: 2
; NumSGPRsForWavesPerEU: 22
; NumVGPRsForWavesPerEU: 18
; AccumOffset: 20
; Occupancy: 8
; WaveLimiterHint : 0
; COMPUTE_PGM_RSRC2:SCRATCH_EN: 0
; COMPUTE_PGM_RSRC2:USER_SGPR: 6
; COMPUTE_PGM_RSRC2:TRAP_HANDLER: 0
; COMPUTE_PGM_RSRC2:TGID_X_EN: 1
; COMPUTE_PGM_RSRC2:TGID_Y_EN: 0
; COMPUTE_PGM_RSRC2:TGID_Z_EN: 0
; COMPUTE_PGM_RSRC2:TIDIG_COMP_CNT: 0
; COMPUTE_PGM_RSRC3_GFX90A:ACCUM_OFFSET: 4
; COMPUTE_PGM_RSRC3_GFX90A:TG_SPLIT: 0
	.section	.text._ZN4vllm17activation_kernelIN3c104HalfETnPFT_RKS3_EXadL_ZNS_15gelu_new_kernelIS2_EES3_S5_EEEEvPS3_PS4_i,"axG",@progbits,_ZN4vllm17activation_kernelIN3c104HalfETnPFT_RKS3_EXadL_ZNS_15gelu_new_kernelIS2_EES3_S5_EEEEvPS3_PS4_i,comdat
	.protected	_ZN4vllm17activation_kernelIN3c104HalfETnPFT_RKS3_EXadL_ZNS_15gelu_new_kernelIS2_EES3_S5_EEEEvPS3_PS4_i ; -- Begin function _ZN4vllm17activation_kernelIN3c104HalfETnPFT_RKS3_EXadL_ZNS_15gelu_new_kernelIS2_EES3_S5_EEEEvPS3_PS4_i
	.globl	_ZN4vllm17activation_kernelIN3c104HalfETnPFT_RKS3_EXadL_ZNS_15gelu_new_kernelIS2_EES3_S5_EEEEvPS3_PS4_i
	.p2align	8
	.type	_ZN4vllm17activation_kernelIN3c104HalfETnPFT_RKS3_EXadL_ZNS_15gelu_new_kernelIS2_EES3_S5_EEEEvPS3_PS4_i,@function
_ZN4vllm17activation_kernelIN3c104HalfETnPFT_RKS3_EXadL_ZNS_15gelu_new_kernelIS2_EES3_S5_EEEEvPS3_PS4_i: ; @_ZN4vllm17activation_kernelIN3c104HalfETnPFT_RKS3_EXadL_ZNS_15gelu_new_kernelIS2_EES3_S5_EEEEvPS3_PS4_i
; %bb.0:
	s_load_dword s8, s[4:5], 0x10
	s_waitcnt lgkmcnt(0)
	v_cmp_gt_i32_e32 vcc, s8, v0
	s_and_saveexec_b64 s[0:1], vcc
	s_cbranch_execz .LBB19_7
; %bb.1:
	s_load_dword s7, s[4:5], 0x24
	s_load_dwordx4 s[0:3], s[4:5], 0x0
	s_ashr_i32 s9, s8, 31
	v_mov_b32_e32 v1, 0
	v_mov_b32_e32 v2, s6
	s_waitcnt lgkmcnt(0)
	s_and_b32 s10, s7, 0xffff
	s_mul_i32 s7, s9, s6
	v_mad_u64_u32 v[2:3], s[4:5], s8, v2, v[0:1]
	s_mov_b32 s18, 0
	v_add_u32_e32 v3, s7, v3
	v_lshlrev_b64 v[2:3], 1, v[2:3]
	s_lshl_b32 s11, s10, 1
	s_mov_b64 s[4:5], 0
	v_mov_b32_e32 v4, s3
	s_mov_b32 s3, 0x3d372713
	s_mov_b32 s12, 0x3f4c422a
	;; [unrolled: 1-line block ×6, first 2 shown]
	v_mov_b32_e32 v5, 0xbd5c1c4e
	v_mov_b32_e32 v6, 0x3e088382
	;; [unrolled: 1-line block ×3, first 2 shown]
	s_movk_i32 s17, 0x7fff
	v_mov_b32_e32 v8, s1
	v_mov_b32_e32 v9, s18
	;; [unrolled: 1-line block ×4, first 2 shown]
	s_branch .LBB19_3
.LBB19_2:                               ;   in Loop: Header=BB19_3 Depth=1
	s_or_b64 exec, exec, s[6:7]
	v_cvt_f16_f32_e32 v14, v14
	v_lshrrev_b32_e32 v13, 16, v13
	v_mul_f16_e32 v12, 0.5, v12
	v_bfi_b32 v13, s17, v14, v13
	v_add_f16_e32 v13, 1.0, v13
	v_mul_f16_e32 v14, v12, v13
	v_add_co_u32_e32 v12, vcc, s0, v2
	v_addc_co_u32_e32 v13, vcc, v8, v3, vcc
	v_add_co_u32_e32 v0, vcc, s10, v0
	v_addc_co_u32_e32 v1, vcc, v1, v9, vcc
	v_cmp_le_i64_e32 vcc, s[8:9], v[0:1]
	s_or_b64 s[4:5], vcc, s[4:5]
	v_add_co_u32_e32 v2, vcc, s11, v2
	v_addc_co_u32_e32 v3, vcc, v3, v10, vcc
	global_store_short v[12:13], v14, off
	s_andn2_b64 exec, exec, s[4:5]
	s_cbranch_execz .LBB19_7
.LBB19_3:                               ; =>This Inner Loop Header: Depth=1
	v_add_co_u32_e32 v12, vcc, s2, v2
	v_addc_co_u32_e32 v13, vcc, v4, v3, vcc
	global_load_ushort v12, v[12:13], off
                                        ; implicit-def: $vgpr14
	s_waitcnt vmcnt(0)
	v_mul_f16_e32 v13, v12, v12
	v_mul_f16_e32 v13, v12, v13
	v_fma_mixlo_f16 v13, v13, s3, 0 op_sel_hi:[1,0,0]
	v_add_f16_e32 v13, v12, v13
	v_fma_mixlo_f16 v13, v13, s12, 0 op_sel_hi:[1,0,0]
	v_cvt_f32_f16_e32 v13, v13
	v_cmp_nlt_f32_e64 s[6:7], |v13|, s13
	s_and_saveexec_b64 s[18:19], s[6:7]
	s_xor_b64 s[6:7], exec, s[18:19]
	s_cbranch_execz .LBB19_5
; %bb.4:                                ;   in Loop: Header=BB19_3 Depth=1
	v_add_f32_e64 v14, |v13|, |v13|
	v_mul_f32_e32 v15, 0x3fb8aa3b, v14
	v_rndne_f32_e32 v16, v15
	v_sub_f32_e32 v17, v15, v16
	v_fma_f32 v15, v14, s14, -v15
	v_fmac_f32_e32 v15, 0x32a5705f, v14
	v_add_f32_e32 v15, v17, v15
	v_cvt_i32_f32_e32 v16, v16
	v_exp_f32_e32 v15, v15
	v_cmp_ngt_f32_e32 vcc, s15, v14
	v_ldexp_f32 v15, v15, v16
	v_cndmask_b32_e32 v15, 0, v15, vcc
	v_cmp_nlt_f32_e32 vcc, s16, v14
	v_cndmask_b32_e32 v14, v11, v15, vcc
	v_add_f32_e32 v14, 1.0, v14
	v_rcp_f32_e32 v14, v14
	v_fma_f32 v14, v14, -2.0, 1.0
.LBB19_5:                               ;   in Loop: Header=BB19_3 Depth=1
	s_andn2_saveexec_b64 s[6:7], s[6:7]
	s_cbranch_execz .LBB19_2
; %bb.6:                                ;   in Loop: Header=BB19_3 Depth=1
	v_mul_f32_e32 v14, v13, v13
	v_mov_b32_e32 v15, 0x3ca908c9
	v_fmac_f32_e32 v15, 0xbbbac73d, v14
	v_fma_f32 v15, v14, v15, v5
	v_fma_f32 v15, v14, v15, v6
	;; [unrolled: 1-line block ×3, first 2 shown]
	v_mul_f32_e64 v15, |v13|, v15
	v_fma_f32 v14, v14, v15, |v13|
	s_branch .LBB19_2
.LBB19_7:
	s_endpgm
	.section	.rodata,"a",@progbits
	.p2align	6, 0x0
	.amdhsa_kernel _ZN4vllm17activation_kernelIN3c104HalfETnPFT_RKS3_EXadL_ZNS_15gelu_new_kernelIS2_EES3_S5_EEEEvPS3_PS4_i
		.amdhsa_group_segment_fixed_size 0
		.amdhsa_private_segment_fixed_size 0
		.amdhsa_kernarg_size 280
		.amdhsa_user_sgpr_count 6
		.amdhsa_user_sgpr_private_segment_buffer 1
		.amdhsa_user_sgpr_dispatch_ptr 0
		.amdhsa_user_sgpr_queue_ptr 0
		.amdhsa_user_sgpr_kernarg_segment_ptr 1
		.amdhsa_user_sgpr_dispatch_id 0
		.amdhsa_user_sgpr_flat_scratch_init 0
		.amdhsa_user_sgpr_kernarg_preload_length 0
		.amdhsa_user_sgpr_kernarg_preload_offset 0
		.amdhsa_user_sgpr_private_segment_size 0
		.amdhsa_uses_dynamic_stack 0
		.amdhsa_system_sgpr_private_segment_wavefront_offset 0
		.amdhsa_system_sgpr_workgroup_id_x 1
		.amdhsa_system_sgpr_workgroup_id_y 0
		.amdhsa_system_sgpr_workgroup_id_z 0
		.amdhsa_system_sgpr_workgroup_info 0
		.amdhsa_system_vgpr_workitem_id 0
		.amdhsa_next_free_vgpr 18
		.amdhsa_next_free_sgpr 20
		.amdhsa_accum_offset 20
		.amdhsa_reserve_vcc 1
		.amdhsa_reserve_flat_scratch 0
		.amdhsa_float_round_mode_32 0
		.amdhsa_float_round_mode_16_64 0
		.amdhsa_float_denorm_mode_32 3
		.amdhsa_float_denorm_mode_16_64 3
		.amdhsa_dx10_clamp 1
		.amdhsa_ieee_mode 1
		.amdhsa_fp16_overflow 0
		.amdhsa_tg_split 0
		.amdhsa_exception_fp_ieee_invalid_op 0
		.amdhsa_exception_fp_denorm_src 0
		.amdhsa_exception_fp_ieee_div_zero 0
		.amdhsa_exception_fp_ieee_overflow 0
		.amdhsa_exception_fp_ieee_underflow 0
		.amdhsa_exception_fp_ieee_inexact 0
		.amdhsa_exception_int_div_zero 0
	.end_amdhsa_kernel
	.section	.text._ZN4vllm17activation_kernelIN3c104HalfETnPFT_RKS3_EXadL_ZNS_15gelu_new_kernelIS2_EES3_S5_EEEEvPS3_PS4_i,"axG",@progbits,_ZN4vllm17activation_kernelIN3c104HalfETnPFT_RKS3_EXadL_ZNS_15gelu_new_kernelIS2_EES3_S5_EEEEvPS3_PS4_i,comdat
.Lfunc_end19:
	.size	_ZN4vllm17activation_kernelIN3c104HalfETnPFT_RKS3_EXadL_ZNS_15gelu_new_kernelIS2_EES3_S5_EEEEvPS3_PS4_i, .Lfunc_end19-_ZN4vllm17activation_kernelIN3c104HalfETnPFT_RKS3_EXadL_ZNS_15gelu_new_kernelIS2_EES3_S5_EEEEvPS3_PS4_i
                                        ; -- End function
	.section	.AMDGPU.csdata,"",@progbits
; Kernel info:
; codeLenInByte = 524
; NumSgprs: 24
; NumVgprs: 18
; NumAgprs: 0
; TotalNumVgprs: 18
; ScratchSize: 0
; MemoryBound: 0
; FloatMode: 240
; IeeeMode: 1
; LDSByteSize: 0 bytes/workgroup (compile time only)
; SGPRBlocks: 2
; VGPRBlocks: 2
; NumSGPRsForWavesPerEU: 24
; NumVGPRsForWavesPerEU: 18
; AccumOffset: 20
; Occupancy: 8
; WaveLimiterHint : 0
; COMPUTE_PGM_RSRC2:SCRATCH_EN: 0
; COMPUTE_PGM_RSRC2:USER_SGPR: 6
; COMPUTE_PGM_RSRC2:TRAP_HANDLER: 0
; COMPUTE_PGM_RSRC2:TGID_X_EN: 1
; COMPUTE_PGM_RSRC2:TGID_Y_EN: 0
; COMPUTE_PGM_RSRC2:TGID_Z_EN: 0
; COMPUTE_PGM_RSRC2:TIDIG_COMP_CNT: 0
; COMPUTE_PGM_RSRC3_GFX90A:ACCUM_OFFSET: 4
; COMPUTE_PGM_RSRC3_GFX90A:TG_SPLIT: 0
	.section	.text._ZN4vllm17activation_kernelIN3c108BFloat16ETnPFT_RKS3_EXadL_ZNS_15gelu_new_kernelIS2_EES3_S5_EEEEvPS3_PS4_i,"axG",@progbits,_ZN4vllm17activation_kernelIN3c108BFloat16ETnPFT_RKS3_EXadL_ZNS_15gelu_new_kernelIS2_EES3_S5_EEEEvPS3_PS4_i,comdat
	.protected	_ZN4vllm17activation_kernelIN3c108BFloat16ETnPFT_RKS3_EXadL_ZNS_15gelu_new_kernelIS2_EES3_S5_EEEEvPS3_PS4_i ; -- Begin function _ZN4vllm17activation_kernelIN3c108BFloat16ETnPFT_RKS3_EXadL_ZNS_15gelu_new_kernelIS2_EES3_S5_EEEEvPS3_PS4_i
	.globl	_ZN4vllm17activation_kernelIN3c108BFloat16ETnPFT_RKS3_EXadL_ZNS_15gelu_new_kernelIS2_EES3_S5_EEEEvPS3_PS4_i
	.p2align	8
	.type	_ZN4vllm17activation_kernelIN3c108BFloat16ETnPFT_RKS3_EXadL_ZNS_15gelu_new_kernelIS2_EES3_S5_EEEEvPS3_PS4_i,@function
_ZN4vllm17activation_kernelIN3c108BFloat16ETnPFT_RKS3_EXadL_ZNS_15gelu_new_kernelIS2_EES3_S5_EEEEvPS3_PS4_i: ; @_ZN4vllm17activation_kernelIN3c108BFloat16ETnPFT_RKS3_EXadL_ZNS_15gelu_new_kernelIS2_EES3_S5_EEEEvPS3_PS4_i
; %bb.0:
	s_load_dword s2, s[4:5], 0x10
	s_waitcnt lgkmcnt(0)
	v_cmp_gt_i32_e32 vcc, s2, v0
	s_and_saveexec_b64 s[0:1], vcc
	s_cbranch_execz .LBB20_7
; %bb.1:
	s_load_dword s0, s[4:5], 0x24
	s_load_dwordx4 s[8:11], s[4:5], 0x0
	s_ashr_i32 s3, s2, 31
	v_mov_b32_e32 v1, 0
	v_mov_b32_e32 v2, s6
	s_waitcnt lgkmcnt(0)
	s_and_b32 s12, s0, 0xffff
	s_mul_i32 s4, s3, s6
	v_mad_u64_u32 v[2:3], s[0:1], s2, v2, v[0:1]
	s_mov_b32 s7, 0
	v_add_u32_e32 v3, s4, v3
	v_lshlrev_b64 v[2:3], 1, v[2:3]
	s_lshl_b32 s13, s12, 1
	s_mov_b64 s[4:5], 0
	v_mov_b32_e32 v4, s11
	s_movk_i32 s11, 0x7fff
	v_mov_b32_e32 v5, 0x7fc00000
	s_mov_b32 s14, 0x3f200000
	s_mov_b32 s15, 0x3fb8aa3b
	;; [unrolled: 1-line block ×4, first 2 shown]
	v_mov_b32_e32 v6, 0xbd5c1c4e
	v_mov_b32_e32 v7, 0x3e088382
	;; [unrolled: 1-line block ×3, first 2 shown]
	s_brev_b32 s18, -2
	v_mov_b32_e32 v9, 0x7fc0
	v_mov_b32_e32 v10, s9
	;; [unrolled: 1-line block ×5, first 2 shown]
	s_branch .LBB20_3
.LBB20_2:                               ;   in Loop: Header=BB20_3 Depth=1
	s_or_b64 exec, exec, s[0:1]
	v_bfi_b32 v15, s18, v16, v15
	v_bfe_u32 v16, v15, 16, 1
	v_add3_u32 v16, v15, v16, s11
	v_and_b32_e32 v16, 0xffff0000, v16
	v_add_f32_e32 v16, 1.0, v16
	v_cmp_o_f32_e32 vcc, v15, v15
	v_cndmask_b32_e32 v15, v5, v16, vcc
	v_mul_f32_e32 v14, 0.5, v14
	v_bfe_u32 v16, v15, 16, 1
	v_bfe_u32 v17, v14, 16, 1
	v_add3_u32 v16, v15, v16, s11
	v_add3_u32 v17, v14, v17, s11
	v_and_b32_e32 v16, 0xffff0000, v16
	v_cmp_o_f32_e32 vcc, v15, v15
	v_and_b32_e32 v17, 0xffff0000, v17
	v_cndmask_b32_e32 v15, v5, v16, vcc
	v_cmp_o_f32_e32 vcc, v14, v14
	v_cndmask_b32_e32 v14, v5, v17, vcc
	v_mul_f32_e32 v14, v14, v15
	v_bfe_u32 v15, v14, 16, 1
	v_add3_u32 v15, v14, v15, s11
	v_lshrrev_b32_e32 v15, 16, v15
	v_cmp_o_f32_e32 vcc, v14, v14
	v_cndmask_b32_e32 v16, v9, v15, vcc
	v_add_co_u32_e32 v14, vcc, s8, v2
	v_addc_co_u32_e32 v15, vcc, v10, v3, vcc
	v_add_co_u32_e32 v0, vcc, s12, v0
	v_addc_co_u32_e32 v1, vcc, v1, v11, vcc
	v_cmp_le_i64_e32 vcc, s[2:3], v[0:1]
	s_or_b64 s[4:5], vcc, s[4:5]
	v_add_co_u32_e32 v2, vcc, s13, v2
	v_addc_co_u32_e32 v3, vcc, v3, v12, vcc
	global_store_short v[14:15], v16, off
	s_andn2_b64 exec, exec, s[4:5]
	s_cbranch_execz .LBB20_7
.LBB20_3:                               ; =>This Inner Loop Header: Depth=1
	v_add_co_u32_e32 v14, vcc, s10, v2
	v_addc_co_u32_e32 v15, vcc, v4, v3, vcc
	global_load_ushort v14, v[14:15], off
	s_waitcnt vmcnt(0)
	v_lshlrev_b32_e32 v14, 16, v14
	v_mul_f32_e32 v15, v14, v14
	v_bfe_u32 v16, v15, 16, 1
	v_add3_u32 v16, v15, v16, s11
	v_and_b32_e32 v16, 0xffff0000, v16
	v_cmp_o_f32_e32 vcc, v15, v15
	v_cndmask_b32_e32 v15, v5, v16, vcc
	v_mul_f32_e32 v15, v15, v14
	v_bfe_u32 v16, v15, 16, 1
	v_add3_u32 v16, v15, v16, s11
	v_and_b32_e32 v16, 0xffff0000, v16
	v_mul_f32_e32 v16, 0x3d372713, v16
	v_cmp_o_f32_e32 vcc, v15, v15
	v_cndmask_b32_e32 v15, v5, v16, vcc
	v_bfe_u32 v16, v15, 16, 1
	v_add3_u32 v16, v15, v16, s11
	v_and_b32_e32 v16, 0xffff0000, v16
	v_cmp_o_f32_e32 vcc, v15, v15
	v_cndmask_b32_e32 v15, v5, v16, vcc
	v_add_f32_e32 v15, v15, v14
	v_bfe_u32 v16, v15, 16, 1
	v_add3_u32 v16, v15, v16, s11
	v_and_b32_e32 v16, 0xffff0000, v16
	v_mul_f32_e32 v16, 0x3f4c422a, v16
	v_cmp_o_f32_e32 vcc, v15, v15
	v_cndmask_b32_e32 v16, v5, v16, vcc
	v_bfe_u32 v15, v16, 16, 1
	v_add3_u32 v15, v16, v15, s11
	v_and_b32_e32 v15, 0xffff0000, v15
	v_cmp_u_f32_e32 vcc, v16, v16
	v_cndmask_b32_e64 v16, |v15|, v5, vcc
	v_cmp_ngt_f32_e64 s[0:1], s14, v16
	s_and_saveexec_b64 s[6:7], s[0:1]
	s_xor_b64 s[6:7], exec, s[6:7]
	s_cbranch_execz .LBB20_5
; %bb.4:                                ;   in Loop: Header=BB20_3 Depth=1
	v_add_f32_e32 v16, v16, v16
	v_mul_f32_e32 v17, 0x3fb8aa3b, v16
	v_rndne_f32_e32 v18, v17
	v_sub_f32_e32 v19, v17, v18
	v_fma_f32 v17, v16, s15, -v17
	v_fmac_f32_e32 v17, 0x32a5705f, v16
	v_add_f32_e32 v17, v19, v17
	v_cvt_i32_f32_e32 v18, v18
	v_exp_f32_e32 v17, v17
	v_cmp_ngt_f32_e64 s[0:1], s16, v16
	v_ldexp_f32 v17, v17, v18
	v_cndmask_b32_e64 v17, 0, v17, s[0:1]
	v_cmp_nlt_f32_e64 s[0:1], s17, v16
	v_cndmask_b32_e64 v16, v13, v17, s[0:1]
	v_add_f32_e32 v16, 1.0, v16
	v_rcp_f32_e32 v16, v16
	v_fma_f32 v16, v16, -2.0, 1.0
.LBB20_5:                               ;   in Loop: Header=BB20_3 Depth=1
	s_or_saveexec_b64 s[0:1], s[6:7]
	v_cndmask_b32_e32 v15, v15, v5, vcc
	s_xor_b64 exec, exec, s[0:1]
	s_cbranch_execz .LBB20_2
; %bb.6:                                ;   in Loop: Header=BB20_3 Depth=1
	v_mul_f32_e32 v17, v15, v15
	v_mov_b32_e32 v18, 0x3ca908c9
	v_fmac_f32_e32 v18, 0xbbbac73d, v17
	v_fma_f32 v18, v17, v18, v6
	v_fma_f32 v18, v17, v18, v7
	;; [unrolled: 1-line block ×3, first 2 shown]
	v_mul_f32_e32 v18, v16, v18
	v_fmac_f32_e32 v16, v17, v18
	s_branch .LBB20_2
.LBB20_7:
	s_endpgm
	.section	.rodata,"a",@progbits
	.p2align	6, 0x0
	.amdhsa_kernel _ZN4vllm17activation_kernelIN3c108BFloat16ETnPFT_RKS3_EXadL_ZNS_15gelu_new_kernelIS2_EES3_S5_EEEEvPS3_PS4_i
		.amdhsa_group_segment_fixed_size 0
		.amdhsa_private_segment_fixed_size 0
		.amdhsa_kernarg_size 280
		.amdhsa_user_sgpr_count 6
		.amdhsa_user_sgpr_private_segment_buffer 1
		.amdhsa_user_sgpr_dispatch_ptr 0
		.amdhsa_user_sgpr_queue_ptr 0
		.amdhsa_user_sgpr_kernarg_segment_ptr 1
		.amdhsa_user_sgpr_dispatch_id 0
		.amdhsa_user_sgpr_flat_scratch_init 0
		.amdhsa_user_sgpr_kernarg_preload_length 0
		.amdhsa_user_sgpr_kernarg_preload_offset 0
		.amdhsa_user_sgpr_private_segment_size 0
		.amdhsa_uses_dynamic_stack 0
		.amdhsa_system_sgpr_private_segment_wavefront_offset 0
		.amdhsa_system_sgpr_workgroup_id_x 1
		.amdhsa_system_sgpr_workgroup_id_y 0
		.amdhsa_system_sgpr_workgroup_id_z 0
		.amdhsa_system_sgpr_workgroup_info 0
		.amdhsa_system_vgpr_workitem_id 0
		.amdhsa_next_free_vgpr 20
		.amdhsa_next_free_sgpr 19
		.amdhsa_accum_offset 20
		.amdhsa_reserve_vcc 1
		.amdhsa_reserve_flat_scratch 0
		.amdhsa_float_round_mode_32 0
		.amdhsa_float_round_mode_16_64 0
		.amdhsa_float_denorm_mode_32 3
		.amdhsa_float_denorm_mode_16_64 3
		.amdhsa_dx10_clamp 1
		.amdhsa_ieee_mode 1
		.amdhsa_fp16_overflow 0
		.amdhsa_tg_split 0
		.amdhsa_exception_fp_ieee_invalid_op 0
		.amdhsa_exception_fp_denorm_src 0
		.amdhsa_exception_fp_ieee_div_zero 0
		.amdhsa_exception_fp_ieee_overflow 0
		.amdhsa_exception_fp_ieee_underflow 0
		.amdhsa_exception_fp_ieee_inexact 0
		.amdhsa_exception_int_div_zero 0
	.end_amdhsa_kernel
	.section	.text._ZN4vllm17activation_kernelIN3c108BFloat16ETnPFT_RKS3_EXadL_ZNS_15gelu_new_kernelIS2_EES3_S5_EEEEvPS3_PS4_i,"axG",@progbits,_ZN4vllm17activation_kernelIN3c108BFloat16ETnPFT_RKS3_EXadL_ZNS_15gelu_new_kernelIS2_EES3_S5_EEEEvPS3_PS4_i,comdat
.Lfunc_end20:
	.size	_ZN4vllm17activation_kernelIN3c108BFloat16ETnPFT_RKS3_EXadL_ZNS_15gelu_new_kernelIS2_EES3_S5_EEEEvPS3_PS4_i, .Lfunc_end20-_ZN4vllm17activation_kernelIN3c108BFloat16ETnPFT_RKS3_EXadL_ZNS_15gelu_new_kernelIS2_EES3_S5_EEEEvPS3_PS4_i
                                        ; -- End function
	.section	.AMDGPU.csdata,"",@progbits
; Kernel info:
; codeLenInByte = 820
; NumSgprs: 23
; NumVgprs: 20
; NumAgprs: 0
; TotalNumVgprs: 20
; ScratchSize: 0
; MemoryBound: 0
; FloatMode: 240
; IeeeMode: 1
; LDSByteSize: 0 bytes/workgroup (compile time only)
; SGPRBlocks: 2
; VGPRBlocks: 2
; NumSGPRsForWavesPerEU: 23
; NumVGPRsForWavesPerEU: 20
; AccumOffset: 20
; Occupancy: 8
; WaveLimiterHint : 0
; COMPUTE_PGM_RSRC2:SCRATCH_EN: 0
; COMPUTE_PGM_RSRC2:USER_SGPR: 6
; COMPUTE_PGM_RSRC2:TRAP_HANDLER: 0
; COMPUTE_PGM_RSRC2:TGID_X_EN: 1
; COMPUTE_PGM_RSRC2:TGID_Y_EN: 0
; COMPUTE_PGM_RSRC2:TGID_Z_EN: 0
; COMPUTE_PGM_RSRC2:TIDIG_COMP_CNT: 0
; COMPUTE_PGM_RSRC3_GFX90A:ACCUM_OFFSET: 4
; COMPUTE_PGM_RSRC3_GFX90A:TG_SPLIT: 0
	.section	.text._ZN4vllm17activation_kernelIfTnPFT_RKS1_EXadL_ZNS_16gelu_fast_kernelIfEES1_S3_EEEEvPS1_PS2_i,"axG",@progbits,_ZN4vllm17activation_kernelIfTnPFT_RKS1_EXadL_ZNS_16gelu_fast_kernelIfEES1_S3_EEEEvPS1_PS2_i,comdat
	.protected	_ZN4vllm17activation_kernelIfTnPFT_RKS1_EXadL_ZNS_16gelu_fast_kernelIfEES1_S3_EEEEvPS1_PS2_i ; -- Begin function _ZN4vllm17activation_kernelIfTnPFT_RKS1_EXadL_ZNS_16gelu_fast_kernelIfEES1_S3_EEEEvPS1_PS2_i
	.globl	_ZN4vllm17activation_kernelIfTnPFT_RKS1_EXadL_ZNS_16gelu_fast_kernelIfEES1_S3_EEEEvPS1_PS2_i
	.p2align	8
	.type	_ZN4vllm17activation_kernelIfTnPFT_RKS1_EXadL_ZNS_16gelu_fast_kernelIfEES1_S3_EEEEvPS1_PS2_i,@function
_ZN4vllm17activation_kernelIfTnPFT_RKS1_EXadL_ZNS_16gelu_fast_kernelIfEES1_S3_EEEEvPS1_PS2_i: ; @_ZN4vllm17activation_kernelIfTnPFT_RKS1_EXadL_ZNS_16gelu_fast_kernelIfEES1_S3_EEEEvPS1_PS2_i
; %bb.0:
	s_load_dword s8, s[4:5], 0x10
	s_waitcnt lgkmcnt(0)
	v_cmp_gt_i32_e32 vcc, s8, v0
	s_and_saveexec_b64 s[0:1], vcc
	s_cbranch_execz .LBB21_7
; %bb.1:
	s_load_dword s7, s[4:5], 0x24
	s_load_dwordx4 s[0:3], s[4:5], 0x0
	s_ashr_i32 s9, s8, 31
	v_mov_b32_e32 v1, 0
	v_mov_b32_e32 v2, s6
	s_waitcnt lgkmcnt(0)
	s_and_b32 s10, s7, 0xffff
	s_mul_i32 s7, s9, s6
	v_mad_u64_u32 v[2:3], s[4:5], s8, v2, v[0:1]
	s_mov_b32 s16, 0
	v_add_u32_e32 v3, s7, v3
	v_lshlrev_b64 v[2:3], 2, v[2:3]
	s_lshl_b32 s11, s10, 2
	s_mov_b64 s[4:5], 0
	v_mov_b32_e32 v4, s3
	s_mov_b32 s3, 0x3f200000
	s_mov_b32 s12, 0x3fb8aa3b
	;; [unrolled: 1-line block ×4, first 2 shown]
	v_mov_b32_e32 v5, 0xbd5c1c4e
	v_mov_b32_e32 v6, 0x3e088382
	;; [unrolled: 1-line block ×3, first 2 shown]
	s_brev_b32 s15, -2
	v_mov_b32_e32 v8, s1
	v_mov_b32_e32 v9, s16
	;; [unrolled: 1-line block ×4, first 2 shown]
	s_branch .LBB21_3
.LBB21_2:                               ;   in Loop: Header=BB21_3 Depth=1
	s_or_b64 exec, exec, s[6:7]
	v_bfi_b32 v13, s15, v14, v13
	v_mul_f32_e32 v12, 0.5, v12
	v_add_f32_e32 v13, 1.0, v13
	v_mul_f32_e32 v14, v12, v13
	v_add_co_u32_e32 v12, vcc, s0, v2
	v_addc_co_u32_e32 v13, vcc, v8, v3, vcc
	v_add_co_u32_e32 v0, vcc, s10, v0
	v_addc_co_u32_e32 v1, vcc, v1, v9, vcc
	v_cmp_le_i64_e32 vcc, s[8:9], v[0:1]
	s_or_b64 s[4:5], vcc, s[4:5]
	v_add_co_u32_e32 v2, vcc, s11, v2
	v_addc_co_u32_e32 v3, vcc, v3, v10, vcc
	global_store_dword v[12:13], v14, off
	s_andn2_b64 exec, exec, s[4:5]
	s_cbranch_execz .LBB21_7
.LBB21_3:                               ; =>This Inner Loop Header: Depth=1
	v_add_co_u32_e32 v12, vcc, s2, v2
	v_addc_co_u32_e32 v13, vcc, v4, v3, vcc
	global_load_dword v12, v[12:13], off
	s_waitcnt vmcnt(0)
	v_mul_f32_e32 v14, 0x3d372713, v12
	v_mul_f32_e32 v13, 0x3f4c422a, v12
	v_fma_f32 v14, v12, v14, 1.0
	v_mul_f32_e32 v13, v13, v14
	v_cmp_nlt_f32_e64 s[6:7], |v13|, s3
                                        ; implicit-def: $vgpr14
	s_and_saveexec_b64 s[16:17], s[6:7]
	s_xor_b64 s[6:7], exec, s[16:17]
	s_cbranch_execz .LBB21_5
; %bb.4:                                ;   in Loop: Header=BB21_3 Depth=1
	v_add_f32_e64 v14, |v13|, |v13|
	v_mul_f32_e32 v15, 0x3fb8aa3b, v14
	v_rndne_f32_e32 v16, v15
	v_sub_f32_e32 v17, v15, v16
	v_fma_f32 v15, v14, s12, -v15
	v_fmac_f32_e32 v15, 0x32a5705f, v14
	v_add_f32_e32 v15, v17, v15
	v_cvt_i32_f32_e32 v16, v16
	v_exp_f32_e32 v15, v15
	v_cmp_ngt_f32_e32 vcc, s13, v14
	v_ldexp_f32 v15, v15, v16
	v_cndmask_b32_e32 v15, 0, v15, vcc
	v_cmp_nlt_f32_e32 vcc, s14, v14
	v_cndmask_b32_e32 v14, v11, v15, vcc
	v_add_f32_e32 v14, 1.0, v14
	v_rcp_f32_e32 v14, v14
	v_fma_f32 v14, v14, -2.0, 1.0
.LBB21_5:                               ;   in Loop: Header=BB21_3 Depth=1
	s_andn2_saveexec_b64 s[6:7], s[6:7]
	s_cbranch_execz .LBB21_2
; %bb.6:                                ;   in Loop: Header=BB21_3 Depth=1
	v_mul_f32_e32 v14, v13, v13
	v_mov_b32_e32 v15, 0x3ca908c9
	v_fmac_f32_e32 v15, 0xbbbac73d, v14
	v_fma_f32 v15, v14, v15, v5
	v_fma_f32 v15, v14, v15, v6
	;; [unrolled: 1-line block ×3, first 2 shown]
	v_mul_f32_e64 v15, |v13|, v15
	v_fma_f32 v14, v14, v15, |v13|
	s_branch .LBB21_2
.LBB21_7:
	s_endpgm
	.section	.rodata,"a",@progbits
	.p2align	6, 0x0
	.amdhsa_kernel _ZN4vllm17activation_kernelIfTnPFT_RKS1_EXadL_ZNS_16gelu_fast_kernelIfEES1_S3_EEEEvPS1_PS2_i
		.amdhsa_group_segment_fixed_size 0
		.amdhsa_private_segment_fixed_size 0
		.amdhsa_kernarg_size 280
		.amdhsa_user_sgpr_count 6
		.amdhsa_user_sgpr_private_segment_buffer 1
		.amdhsa_user_sgpr_dispatch_ptr 0
		.amdhsa_user_sgpr_queue_ptr 0
		.amdhsa_user_sgpr_kernarg_segment_ptr 1
		.amdhsa_user_sgpr_dispatch_id 0
		.amdhsa_user_sgpr_flat_scratch_init 0
		.amdhsa_user_sgpr_kernarg_preload_length 0
		.amdhsa_user_sgpr_kernarg_preload_offset 0
		.amdhsa_user_sgpr_private_segment_size 0
		.amdhsa_uses_dynamic_stack 0
		.amdhsa_system_sgpr_private_segment_wavefront_offset 0
		.amdhsa_system_sgpr_workgroup_id_x 1
		.amdhsa_system_sgpr_workgroup_id_y 0
		.amdhsa_system_sgpr_workgroup_id_z 0
		.amdhsa_system_sgpr_workgroup_info 0
		.amdhsa_system_vgpr_workitem_id 0
		.amdhsa_next_free_vgpr 18
		.amdhsa_next_free_sgpr 18
		.amdhsa_accum_offset 20
		.amdhsa_reserve_vcc 1
		.amdhsa_reserve_flat_scratch 0
		.amdhsa_float_round_mode_32 0
		.amdhsa_float_round_mode_16_64 0
		.amdhsa_float_denorm_mode_32 3
		.amdhsa_float_denorm_mode_16_64 3
		.amdhsa_dx10_clamp 1
		.amdhsa_ieee_mode 1
		.amdhsa_fp16_overflow 0
		.amdhsa_tg_split 0
		.amdhsa_exception_fp_ieee_invalid_op 0
		.amdhsa_exception_fp_denorm_src 0
		.amdhsa_exception_fp_ieee_div_zero 0
		.amdhsa_exception_fp_ieee_overflow 0
		.amdhsa_exception_fp_ieee_underflow 0
		.amdhsa_exception_fp_ieee_inexact 0
		.amdhsa_exception_int_div_zero 0
	.end_amdhsa_kernel
	.section	.text._ZN4vllm17activation_kernelIfTnPFT_RKS1_EXadL_ZNS_16gelu_fast_kernelIfEES1_S3_EEEEvPS1_PS2_i,"axG",@progbits,_ZN4vllm17activation_kernelIfTnPFT_RKS1_EXadL_ZNS_16gelu_fast_kernelIfEES1_S3_EEEEvPS1_PS2_i,comdat
.Lfunc_end21:
	.size	_ZN4vllm17activation_kernelIfTnPFT_RKS1_EXadL_ZNS_16gelu_fast_kernelIfEES1_S3_EEEEvPS1_PS2_i, .Lfunc_end21-_ZN4vllm17activation_kernelIfTnPFT_RKS1_EXadL_ZNS_16gelu_fast_kernelIfEES1_S3_EEEEvPS1_PS2_i
                                        ; -- End function
	.section	.AMDGPU.csdata,"",@progbits
; Kernel info:
; codeLenInByte = 496
; NumSgprs: 22
; NumVgprs: 18
; NumAgprs: 0
; TotalNumVgprs: 18
; ScratchSize: 0
; MemoryBound: 0
; FloatMode: 240
; IeeeMode: 1
; LDSByteSize: 0 bytes/workgroup (compile time only)
; SGPRBlocks: 2
; VGPRBlocks: 2
; NumSGPRsForWavesPerEU: 22
; NumVGPRsForWavesPerEU: 18
; AccumOffset: 20
; Occupancy: 8
; WaveLimiterHint : 0
; COMPUTE_PGM_RSRC2:SCRATCH_EN: 0
; COMPUTE_PGM_RSRC2:USER_SGPR: 6
; COMPUTE_PGM_RSRC2:TRAP_HANDLER: 0
; COMPUTE_PGM_RSRC2:TGID_X_EN: 1
; COMPUTE_PGM_RSRC2:TGID_Y_EN: 0
; COMPUTE_PGM_RSRC2:TGID_Z_EN: 0
; COMPUTE_PGM_RSRC2:TIDIG_COMP_CNT: 0
; COMPUTE_PGM_RSRC3_GFX90A:ACCUM_OFFSET: 4
; COMPUTE_PGM_RSRC3_GFX90A:TG_SPLIT: 0
	.section	.text._ZN4vllm17activation_kernelIN3c104HalfETnPFT_RKS3_EXadL_ZNS_16gelu_fast_kernelIS2_EES3_S5_EEEEvPS3_PS4_i,"axG",@progbits,_ZN4vllm17activation_kernelIN3c104HalfETnPFT_RKS3_EXadL_ZNS_16gelu_fast_kernelIS2_EES3_S5_EEEEvPS3_PS4_i,comdat
	.protected	_ZN4vllm17activation_kernelIN3c104HalfETnPFT_RKS3_EXadL_ZNS_16gelu_fast_kernelIS2_EES3_S5_EEEEvPS3_PS4_i ; -- Begin function _ZN4vllm17activation_kernelIN3c104HalfETnPFT_RKS3_EXadL_ZNS_16gelu_fast_kernelIS2_EES3_S5_EEEEvPS3_PS4_i
	.globl	_ZN4vllm17activation_kernelIN3c104HalfETnPFT_RKS3_EXadL_ZNS_16gelu_fast_kernelIS2_EES3_S5_EEEEvPS3_PS4_i
	.p2align	8
	.type	_ZN4vllm17activation_kernelIN3c104HalfETnPFT_RKS3_EXadL_ZNS_16gelu_fast_kernelIS2_EES3_S5_EEEEvPS3_PS4_i,@function
_ZN4vllm17activation_kernelIN3c104HalfETnPFT_RKS3_EXadL_ZNS_16gelu_fast_kernelIS2_EES3_S5_EEEEvPS3_PS4_i: ; @_ZN4vllm17activation_kernelIN3c104HalfETnPFT_RKS3_EXadL_ZNS_16gelu_fast_kernelIS2_EES3_S5_EEEEvPS3_PS4_i
; %bb.0:
	s_load_dword s8, s[4:5], 0x10
	s_waitcnt lgkmcnt(0)
	v_cmp_gt_i32_e32 vcc, s8, v0
	s_and_saveexec_b64 s[0:1], vcc
	s_cbranch_execz .LBB22_7
; %bb.1:
	s_load_dword s7, s[4:5], 0x24
	s_load_dwordx4 s[0:3], s[4:5], 0x0
	s_ashr_i32 s9, s8, 31
	v_mov_b32_e32 v1, 0
	v_mov_b32_e32 v2, s6
	s_waitcnt lgkmcnt(0)
	s_and_b32 s10, s7, 0xffff
	s_mul_i32 s7, s9, s6
	v_mad_u64_u32 v[2:3], s[4:5], s8, v2, v[0:1]
	s_mov_b32 s18, 0
	v_add_u32_e32 v3, s7, v3
	v_lshlrev_b64 v[2:3], 1, v[2:3]
	s_lshl_b32 s11, s10, 1
	s_mov_b64 s[4:5], 0
	v_mov_b32_e32 v4, s3
	s_mov_b32 s3, 0x3f4c422a
	s_mov_b32 s12, 0x3d372713
	s_mov_b32 s13, 0x3f200000
	s_mov_b32 s14, 0x3fb8aa3b
	s_mov_b32 s15, 0xc2ce8ed0
	s_mov_b32 s16, 0x42b17218
	v_mov_b32_e32 v5, 0xbd5c1c4e
	v_mov_b32_e32 v6, 0x3e088382
	;; [unrolled: 1-line block ×3, first 2 shown]
	s_movk_i32 s17, 0x7fff
	v_mov_b32_e32 v8, s1
	v_mov_b32_e32 v9, s18
	;; [unrolled: 1-line block ×4, first 2 shown]
	s_branch .LBB22_3
.LBB22_2:                               ;   in Loop: Header=BB22_3 Depth=1
	s_or_b64 exec, exec, s[6:7]
	v_cvt_f16_f32_e32 v14, v14
	v_lshrrev_b32_e32 v13, 16, v13
	v_mul_f16_e32 v12, 0.5, v12
	v_bfi_b32 v13, s17, v14, v13
	v_add_f16_e32 v13, 1.0, v13
	v_mul_f16_e32 v14, v12, v13
	v_add_co_u32_e32 v12, vcc, s0, v2
	v_addc_co_u32_e32 v13, vcc, v8, v3, vcc
	v_add_co_u32_e32 v0, vcc, s10, v0
	v_addc_co_u32_e32 v1, vcc, v1, v9, vcc
	v_cmp_le_i64_e32 vcc, s[8:9], v[0:1]
	s_or_b64 s[4:5], vcc, s[4:5]
	v_add_co_u32_e32 v2, vcc, s11, v2
	v_addc_co_u32_e32 v3, vcc, v3, v10, vcc
	global_store_short v[12:13], v14, off
	s_andn2_b64 exec, exec, s[4:5]
	s_cbranch_execz .LBB22_7
.LBB22_3:                               ; =>This Inner Loop Header: Depth=1
	v_add_co_u32_e32 v12, vcc, s2, v2
	v_addc_co_u32_e32 v13, vcc, v4, v3, vcc
	global_load_ushort v12, v[12:13], off
	s_waitcnt vmcnt(0)
	v_fma_mixlo_f16 v14, v12, s12, 0 op_sel_hi:[1,0,0]
	v_fma_mixlo_f16 v13, v12, s3, 0 op_sel_hi:[1,0,0]
	v_fma_f16 v14, v12, v14, 1.0
	v_mul_f16_e32 v13, v14, v13
	v_cvt_f32_f16_e32 v13, v13
                                        ; implicit-def: $vgpr14
	v_cmp_nlt_f32_e64 s[6:7], |v13|, s13
	s_and_saveexec_b64 s[18:19], s[6:7]
	s_xor_b64 s[6:7], exec, s[18:19]
	s_cbranch_execz .LBB22_5
; %bb.4:                                ;   in Loop: Header=BB22_3 Depth=1
	v_add_f32_e64 v14, |v13|, |v13|
	v_mul_f32_e32 v15, 0x3fb8aa3b, v14
	v_rndne_f32_e32 v16, v15
	v_sub_f32_e32 v17, v15, v16
	v_fma_f32 v15, v14, s14, -v15
	v_fmac_f32_e32 v15, 0x32a5705f, v14
	v_add_f32_e32 v15, v17, v15
	v_cvt_i32_f32_e32 v16, v16
	v_exp_f32_e32 v15, v15
	v_cmp_ngt_f32_e32 vcc, s15, v14
	v_ldexp_f32 v15, v15, v16
	v_cndmask_b32_e32 v15, 0, v15, vcc
	v_cmp_nlt_f32_e32 vcc, s16, v14
	v_cndmask_b32_e32 v14, v11, v15, vcc
	v_add_f32_e32 v14, 1.0, v14
	v_rcp_f32_e32 v14, v14
	v_fma_f32 v14, v14, -2.0, 1.0
.LBB22_5:                               ;   in Loop: Header=BB22_3 Depth=1
	s_andn2_saveexec_b64 s[6:7], s[6:7]
	s_cbranch_execz .LBB22_2
; %bb.6:                                ;   in Loop: Header=BB22_3 Depth=1
	v_mul_f32_e32 v14, v13, v13
	v_mov_b32_e32 v15, 0x3ca908c9
	v_fmac_f32_e32 v15, 0xbbbac73d, v14
	v_fma_f32 v15, v14, v15, v5
	v_fma_f32 v15, v14, v15, v6
	;; [unrolled: 1-line block ×3, first 2 shown]
	v_mul_f32_e64 v15, |v13|, v15
	v_fma_f32 v14, v14, v15, |v13|
	s_branch .LBB22_2
.LBB22_7:
	s_endpgm
	.section	.rodata,"a",@progbits
	.p2align	6, 0x0
	.amdhsa_kernel _ZN4vllm17activation_kernelIN3c104HalfETnPFT_RKS3_EXadL_ZNS_16gelu_fast_kernelIS2_EES3_S5_EEEEvPS3_PS4_i
		.amdhsa_group_segment_fixed_size 0
		.amdhsa_private_segment_fixed_size 0
		.amdhsa_kernarg_size 280
		.amdhsa_user_sgpr_count 6
		.amdhsa_user_sgpr_private_segment_buffer 1
		.amdhsa_user_sgpr_dispatch_ptr 0
		.amdhsa_user_sgpr_queue_ptr 0
		.amdhsa_user_sgpr_kernarg_segment_ptr 1
		.amdhsa_user_sgpr_dispatch_id 0
		.amdhsa_user_sgpr_flat_scratch_init 0
		.amdhsa_user_sgpr_kernarg_preload_length 0
		.amdhsa_user_sgpr_kernarg_preload_offset 0
		.amdhsa_user_sgpr_private_segment_size 0
		.amdhsa_uses_dynamic_stack 0
		.amdhsa_system_sgpr_private_segment_wavefront_offset 0
		.amdhsa_system_sgpr_workgroup_id_x 1
		.amdhsa_system_sgpr_workgroup_id_y 0
		.amdhsa_system_sgpr_workgroup_id_z 0
		.amdhsa_system_sgpr_workgroup_info 0
		.amdhsa_system_vgpr_workitem_id 0
		.amdhsa_next_free_vgpr 18
		.amdhsa_next_free_sgpr 20
		.amdhsa_accum_offset 20
		.amdhsa_reserve_vcc 1
		.amdhsa_reserve_flat_scratch 0
		.amdhsa_float_round_mode_32 0
		.amdhsa_float_round_mode_16_64 0
		.amdhsa_float_denorm_mode_32 3
		.amdhsa_float_denorm_mode_16_64 3
		.amdhsa_dx10_clamp 1
		.amdhsa_ieee_mode 1
		.amdhsa_fp16_overflow 0
		.amdhsa_tg_split 0
		.amdhsa_exception_fp_ieee_invalid_op 0
		.amdhsa_exception_fp_denorm_src 0
		.amdhsa_exception_fp_ieee_div_zero 0
		.amdhsa_exception_fp_ieee_overflow 0
		.amdhsa_exception_fp_ieee_underflow 0
		.amdhsa_exception_fp_ieee_inexact 0
		.amdhsa_exception_int_div_zero 0
	.end_amdhsa_kernel
	.section	.text._ZN4vllm17activation_kernelIN3c104HalfETnPFT_RKS3_EXadL_ZNS_16gelu_fast_kernelIS2_EES3_S5_EEEEvPS3_PS4_i,"axG",@progbits,_ZN4vllm17activation_kernelIN3c104HalfETnPFT_RKS3_EXadL_ZNS_16gelu_fast_kernelIS2_EES3_S5_EEEEvPS3_PS4_i,comdat
.Lfunc_end22:
	.size	_ZN4vllm17activation_kernelIN3c104HalfETnPFT_RKS3_EXadL_ZNS_16gelu_fast_kernelIS2_EES3_S5_EEEEvPS3_PS4_i, .Lfunc_end22-_ZN4vllm17activation_kernelIN3c104HalfETnPFT_RKS3_EXadL_ZNS_16gelu_fast_kernelIS2_EES3_S5_EEEEvPS3_PS4_i
                                        ; -- End function
	.section	.AMDGPU.csdata,"",@progbits
; Kernel info:
; codeLenInByte = 524
; NumSgprs: 24
; NumVgprs: 18
; NumAgprs: 0
; TotalNumVgprs: 18
; ScratchSize: 0
; MemoryBound: 0
; FloatMode: 240
; IeeeMode: 1
; LDSByteSize: 0 bytes/workgroup (compile time only)
; SGPRBlocks: 2
; VGPRBlocks: 2
; NumSGPRsForWavesPerEU: 24
; NumVGPRsForWavesPerEU: 18
; AccumOffset: 20
; Occupancy: 8
; WaveLimiterHint : 0
; COMPUTE_PGM_RSRC2:SCRATCH_EN: 0
; COMPUTE_PGM_RSRC2:USER_SGPR: 6
; COMPUTE_PGM_RSRC2:TRAP_HANDLER: 0
; COMPUTE_PGM_RSRC2:TGID_X_EN: 1
; COMPUTE_PGM_RSRC2:TGID_Y_EN: 0
; COMPUTE_PGM_RSRC2:TGID_Z_EN: 0
; COMPUTE_PGM_RSRC2:TIDIG_COMP_CNT: 0
; COMPUTE_PGM_RSRC3_GFX90A:ACCUM_OFFSET: 4
; COMPUTE_PGM_RSRC3_GFX90A:TG_SPLIT: 0
	.section	.text._ZN4vllm17activation_kernelIN3c108BFloat16ETnPFT_RKS3_EXadL_ZNS_16gelu_fast_kernelIS2_EES3_S5_EEEEvPS3_PS4_i,"axG",@progbits,_ZN4vllm17activation_kernelIN3c108BFloat16ETnPFT_RKS3_EXadL_ZNS_16gelu_fast_kernelIS2_EES3_S5_EEEEvPS3_PS4_i,comdat
	.protected	_ZN4vllm17activation_kernelIN3c108BFloat16ETnPFT_RKS3_EXadL_ZNS_16gelu_fast_kernelIS2_EES3_S5_EEEEvPS3_PS4_i ; -- Begin function _ZN4vllm17activation_kernelIN3c108BFloat16ETnPFT_RKS3_EXadL_ZNS_16gelu_fast_kernelIS2_EES3_S5_EEEEvPS3_PS4_i
	.globl	_ZN4vllm17activation_kernelIN3c108BFloat16ETnPFT_RKS3_EXadL_ZNS_16gelu_fast_kernelIS2_EES3_S5_EEEEvPS3_PS4_i
	.p2align	8
	.type	_ZN4vllm17activation_kernelIN3c108BFloat16ETnPFT_RKS3_EXadL_ZNS_16gelu_fast_kernelIS2_EES3_S5_EEEEvPS3_PS4_i,@function
_ZN4vllm17activation_kernelIN3c108BFloat16ETnPFT_RKS3_EXadL_ZNS_16gelu_fast_kernelIS2_EES3_S5_EEEEvPS3_PS4_i: ; @_ZN4vllm17activation_kernelIN3c108BFloat16ETnPFT_RKS3_EXadL_ZNS_16gelu_fast_kernelIS2_EES3_S5_EEEEvPS3_PS4_i
; %bb.0:
	s_load_dword s2, s[4:5], 0x10
	s_waitcnt lgkmcnt(0)
	v_cmp_gt_i32_e32 vcc, s2, v0
	s_and_saveexec_b64 s[0:1], vcc
	s_cbranch_execz .LBB23_7
; %bb.1:
	s_load_dword s0, s[4:5], 0x24
	s_load_dwordx4 s[8:11], s[4:5], 0x0
	s_ashr_i32 s3, s2, 31
	v_mov_b32_e32 v1, 0
	v_mov_b32_e32 v2, s6
	s_waitcnt lgkmcnt(0)
	s_and_b32 s12, s0, 0xffff
	s_mul_i32 s4, s3, s6
	v_mad_u64_u32 v[2:3], s[0:1], s2, v2, v[0:1]
	s_mov_b32 s7, 0
	v_add_u32_e32 v3, s4, v3
	v_lshlrev_b64 v[2:3], 1, v[2:3]
	s_lshl_b32 s13, s12, 1
	s_mov_b64 s[4:5], 0
	v_mov_b32_e32 v4, s11
	s_movk_i32 s11, 0x7fff
	v_mov_b32_e32 v5, 0x7fc00000
	s_mov_b32 s14, 0x3f200000
	s_mov_b32 s15, 0x3fb8aa3b
	;; [unrolled: 1-line block ×4, first 2 shown]
	v_mov_b32_e32 v6, 0xbd5c1c4e
	v_mov_b32_e32 v7, 0x3e088382
	;; [unrolled: 1-line block ×3, first 2 shown]
	s_brev_b32 s18, -2
	v_mov_b32_e32 v9, 0x7fc0
	v_mov_b32_e32 v10, s9
	;; [unrolled: 1-line block ×5, first 2 shown]
	s_branch .LBB23_3
.LBB23_2:                               ;   in Loop: Header=BB23_3 Depth=1
	s_or_b64 exec, exec, s[0:1]
	v_bfi_b32 v15, s18, v16, v15
	v_bfe_u32 v16, v15, 16, 1
	v_add3_u32 v16, v15, v16, s11
	v_and_b32_e32 v16, 0xffff0000, v16
	v_add_f32_e32 v16, 1.0, v16
	v_cmp_o_f32_e32 vcc, v15, v15
	v_cndmask_b32_e32 v15, v5, v16, vcc
	v_mul_f32_e32 v14, 0.5, v14
	v_bfe_u32 v16, v15, 16, 1
	v_bfe_u32 v17, v14, 16, 1
	v_add3_u32 v16, v15, v16, s11
	v_add3_u32 v17, v14, v17, s11
	v_and_b32_e32 v16, 0xffff0000, v16
	v_cmp_o_f32_e32 vcc, v15, v15
	v_and_b32_e32 v17, 0xffff0000, v17
	v_cndmask_b32_e32 v15, v5, v16, vcc
	v_cmp_o_f32_e32 vcc, v14, v14
	v_cndmask_b32_e32 v14, v5, v17, vcc
	v_mul_f32_e32 v14, v14, v15
	v_bfe_u32 v15, v14, 16, 1
	v_add3_u32 v15, v14, v15, s11
	v_lshrrev_b32_e32 v15, 16, v15
	v_cmp_o_f32_e32 vcc, v14, v14
	v_cndmask_b32_e32 v16, v9, v15, vcc
	v_add_co_u32_e32 v14, vcc, s8, v2
	v_addc_co_u32_e32 v15, vcc, v10, v3, vcc
	v_add_co_u32_e32 v0, vcc, s12, v0
	v_addc_co_u32_e32 v1, vcc, v1, v11, vcc
	v_cmp_le_i64_e32 vcc, s[2:3], v[0:1]
	s_or_b64 s[4:5], vcc, s[4:5]
	v_add_co_u32_e32 v2, vcc, s13, v2
	v_addc_co_u32_e32 v3, vcc, v3, v12, vcc
	global_store_short v[14:15], v16, off
	s_andn2_b64 exec, exec, s[4:5]
	s_cbranch_execz .LBB23_7
.LBB23_3:                               ; =>This Inner Loop Header: Depth=1
	v_add_co_u32_e32 v14, vcc, s10, v2
	v_addc_co_u32_e32 v15, vcc, v4, v3, vcc
	global_load_ushort v14, v[14:15], off
	s_waitcnt vmcnt(0)
	v_lshlrev_b32_e32 v14, 16, v14
	v_mul_f32_e32 v16, 0x3d372713, v14
	v_bfe_u32 v17, v16, 16, 1
	v_add3_u32 v17, v16, v17, s11
	v_and_b32_e32 v17, 0xffff0000, v17
	v_cmp_o_f32_e32 vcc, v16, v16
	v_cndmask_b32_e32 v16, v5, v17, vcc
	v_mul_f32_e32 v15, 0x3f4c422a, v14
	v_mul_f32_e32 v16, v16, v14
	v_bfe_u32 v18, v15, 16, 1
	v_bfe_u32 v17, v16, 16, 1
	v_add3_u32 v18, v15, v18, s11
	v_add3_u32 v17, v16, v17, s11
	v_and_b32_e32 v18, 0xffff0000, v18
	v_cmp_o_f32_e32 vcc, v15, v15
	v_and_b32_e32 v17, 0xffff0000, v17
	v_cndmask_b32_e32 v15, v5, v18, vcc
	v_add_f32_e32 v17, 1.0, v17
	v_cmp_o_f32_e32 vcc, v16, v16
	v_cndmask_b32_e32 v16, v5, v17, vcc
	v_bfe_u32 v17, v16, 16, 1
	v_add3_u32 v17, v16, v17, s11
	v_and_b32_e32 v17, 0xffff0000, v17
	v_cmp_o_f32_e32 vcc, v16, v16
	v_cndmask_b32_e32 v16, v5, v17, vcc
	v_mul_f32_e32 v16, v15, v16
	v_bfe_u32 v15, v16, 16, 1
	v_add3_u32 v15, v16, v15, s11
	v_and_b32_e32 v15, 0xffff0000, v15
	v_cmp_u_f32_e32 vcc, v16, v16
	v_cndmask_b32_e64 v16, |v15|, v5, vcc
	v_cmp_ngt_f32_e64 s[0:1], s14, v16
	s_and_saveexec_b64 s[6:7], s[0:1]
	s_xor_b64 s[6:7], exec, s[6:7]
	s_cbranch_execz .LBB23_5
; %bb.4:                                ;   in Loop: Header=BB23_3 Depth=1
	v_add_f32_e32 v16, v16, v16
	v_mul_f32_e32 v17, 0x3fb8aa3b, v16
	v_rndne_f32_e32 v18, v17
	v_sub_f32_e32 v19, v17, v18
	v_fma_f32 v17, v16, s15, -v17
	v_fmac_f32_e32 v17, 0x32a5705f, v16
	v_add_f32_e32 v17, v19, v17
	v_cvt_i32_f32_e32 v18, v18
	v_exp_f32_e32 v17, v17
	v_cmp_ngt_f32_e64 s[0:1], s16, v16
	v_ldexp_f32 v17, v17, v18
	v_cndmask_b32_e64 v17, 0, v17, s[0:1]
	v_cmp_nlt_f32_e64 s[0:1], s17, v16
	v_cndmask_b32_e64 v16, v13, v17, s[0:1]
	v_add_f32_e32 v16, 1.0, v16
	v_rcp_f32_e32 v16, v16
	v_fma_f32 v16, v16, -2.0, 1.0
.LBB23_5:                               ;   in Loop: Header=BB23_3 Depth=1
	s_or_saveexec_b64 s[0:1], s[6:7]
	v_cndmask_b32_e32 v15, v15, v5, vcc
	s_xor_b64 exec, exec, s[0:1]
	s_cbranch_execz .LBB23_2
; %bb.6:                                ;   in Loop: Header=BB23_3 Depth=1
	v_mul_f32_e32 v17, v15, v15
	v_mov_b32_e32 v18, 0x3ca908c9
	v_fmac_f32_e32 v18, 0xbbbac73d, v17
	v_fma_f32 v18, v17, v18, v6
	v_fma_f32 v18, v17, v18, v7
	;; [unrolled: 1-line block ×3, first 2 shown]
	v_mul_f32_e32 v18, v16, v18
	v_fmac_f32_e32 v16, v17, v18
	s_branch .LBB23_2
.LBB23_7:
	s_endpgm
	.section	.rodata,"a",@progbits
	.p2align	6, 0x0
	.amdhsa_kernel _ZN4vllm17activation_kernelIN3c108BFloat16ETnPFT_RKS3_EXadL_ZNS_16gelu_fast_kernelIS2_EES3_S5_EEEEvPS3_PS4_i
		.amdhsa_group_segment_fixed_size 0
		.amdhsa_private_segment_fixed_size 0
		.amdhsa_kernarg_size 280
		.amdhsa_user_sgpr_count 6
		.amdhsa_user_sgpr_private_segment_buffer 1
		.amdhsa_user_sgpr_dispatch_ptr 0
		.amdhsa_user_sgpr_queue_ptr 0
		.amdhsa_user_sgpr_kernarg_segment_ptr 1
		.amdhsa_user_sgpr_dispatch_id 0
		.amdhsa_user_sgpr_flat_scratch_init 0
		.amdhsa_user_sgpr_kernarg_preload_length 0
		.amdhsa_user_sgpr_kernarg_preload_offset 0
		.amdhsa_user_sgpr_private_segment_size 0
		.amdhsa_uses_dynamic_stack 0
		.amdhsa_system_sgpr_private_segment_wavefront_offset 0
		.amdhsa_system_sgpr_workgroup_id_x 1
		.amdhsa_system_sgpr_workgroup_id_y 0
		.amdhsa_system_sgpr_workgroup_id_z 0
		.amdhsa_system_sgpr_workgroup_info 0
		.amdhsa_system_vgpr_workitem_id 0
		.amdhsa_next_free_vgpr 20
		.amdhsa_next_free_sgpr 19
		.amdhsa_accum_offset 20
		.amdhsa_reserve_vcc 1
		.amdhsa_reserve_flat_scratch 0
		.amdhsa_float_round_mode_32 0
		.amdhsa_float_round_mode_16_64 0
		.amdhsa_float_denorm_mode_32 3
		.amdhsa_float_denorm_mode_16_64 3
		.amdhsa_dx10_clamp 1
		.amdhsa_ieee_mode 1
		.amdhsa_fp16_overflow 0
		.amdhsa_tg_split 0
		.amdhsa_exception_fp_ieee_invalid_op 0
		.amdhsa_exception_fp_denorm_src 0
		.amdhsa_exception_fp_ieee_div_zero 0
		.amdhsa_exception_fp_ieee_overflow 0
		.amdhsa_exception_fp_ieee_underflow 0
		.amdhsa_exception_fp_ieee_inexact 0
		.amdhsa_exception_int_div_zero 0
	.end_amdhsa_kernel
	.section	.text._ZN4vllm17activation_kernelIN3c108BFloat16ETnPFT_RKS3_EXadL_ZNS_16gelu_fast_kernelIS2_EES3_S5_EEEEvPS3_PS4_i,"axG",@progbits,_ZN4vllm17activation_kernelIN3c108BFloat16ETnPFT_RKS3_EXadL_ZNS_16gelu_fast_kernelIS2_EES3_S5_EEEEvPS3_PS4_i,comdat
.Lfunc_end23:
	.size	_ZN4vllm17activation_kernelIN3c108BFloat16ETnPFT_RKS3_EXadL_ZNS_16gelu_fast_kernelIS2_EES3_S5_EEEEvPS3_PS4_i, .Lfunc_end23-_ZN4vllm17activation_kernelIN3c108BFloat16ETnPFT_RKS3_EXadL_ZNS_16gelu_fast_kernelIS2_EES3_S5_EEEEvPS3_PS4_i
                                        ; -- End function
	.section	.AMDGPU.csdata,"",@progbits
; Kernel info:
; codeLenInByte = 820
; NumSgprs: 23
; NumVgprs: 20
; NumAgprs: 0
; TotalNumVgprs: 20
; ScratchSize: 0
; MemoryBound: 0
; FloatMode: 240
; IeeeMode: 1
; LDSByteSize: 0 bytes/workgroup (compile time only)
; SGPRBlocks: 2
; VGPRBlocks: 2
; NumSGPRsForWavesPerEU: 23
; NumVGPRsForWavesPerEU: 20
; AccumOffset: 20
; Occupancy: 8
; WaveLimiterHint : 0
; COMPUTE_PGM_RSRC2:SCRATCH_EN: 0
; COMPUTE_PGM_RSRC2:USER_SGPR: 6
; COMPUTE_PGM_RSRC2:TRAP_HANDLER: 0
; COMPUTE_PGM_RSRC2:TGID_X_EN: 1
; COMPUTE_PGM_RSRC2:TGID_Y_EN: 0
; COMPUTE_PGM_RSRC2:TGID_Z_EN: 0
; COMPUTE_PGM_RSRC2:TIDIG_COMP_CNT: 0
; COMPUTE_PGM_RSRC3_GFX90A:ACCUM_OFFSET: 4
; COMPUTE_PGM_RSRC3_GFX90A:TG_SPLIT: 0
	.section	.text._ZN4vllm17activation_kernelIfTnPFT_RKS1_EXadL_ZNS_17gelu_quick_kernelIfEES1_S3_EEEEvPS1_PS2_i,"axG",@progbits,_ZN4vllm17activation_kernelIfTnPFT_RKS1_EXadL_ZNS_17gelu_quick_kernelIfEES1_S3_EEEEvPS1_PS2_i,comdat
	.protected	_ZN4vllm17activation_kernelIfTnPFT_RKS1_EXadL_ZNS_17gelu_quick_kernelIfEES1_S3_EEEEvPS1_PS2_i ; -- Begin function _ZN4vllm17activation_kernelIfTnPFT_RKS1_EXadL_ZNS_17gelu_quick_kernelIfEES1_S3_EEEEvPS1_PS2_i
	.globl	_ZN4vllm17activation_kernelIfTnPFT_RKS1_EXadL_ZNS_17gelu_quick_kernelIfEES1_S3_EEEEvPS1_PS2_i
	.p2align	8
	.type	_ZN4vllm17activation_kernelIfTnPFT_RKS1_EXadL_ZNS_17gelu_quick_kernelIfEES1_S3_EEEEvPS1_PS2_i,@function
_ZN4vllm17activation_kernelIfTnPFT_RKS1_EXadL_ZNS_17gelu_quick_kernelIfEES1_S3_EEEEvPS1_PS2_i: ; @_ZN4vllm17activation_kernelIfTnPFT_RKS1_EXadL_ZNS_17gelu_quick_kernelIfEES1_S3_EEEEvPS1_PS2_i
; %bb.0:
	s_load_dword s2, s[4:5], 0x10
	s_waitcnt lgkmcnt(0)
	v_cmp_gt_i32_e32 vcc, s2, v0
	s_and_saveexec_b64 s[0:1], vcc
	s_cbranch_execz .LBB24_12
; %bb.1:
	s_load_dword s0, s[4:5], 0x24
	s_ashr_i32 s3, s2, 31
	v_mov_b32_e32 v2, s3
	v_mov_b32_e32 v1, 0
	s_mov_b32 s14, 0
	s_waitcnt lgkmcnt(0)
	s_and_b32 s13, s0, 0xffff
	v_add_co_u32_e32 v4, vcc, s13, v0
	v_addc_co_u32_e64 v5, s[0:1], 0, 0, vcc
	v_cmp_lt_i64_e32 vcc, s[2:3], v[4:5]
	v_cndmask_b32_e32 v6, v2, v5, vcc
	v_mov_b32_e32 v2, s2
	v_cndmask_b32_e32 v3, v2, v4, vcc
	v_cmp_gt_i64_e32 vcc, s[2:3], v[4:5]
	v_cndmask_b32_e64 v2, 0, 1, vcc
	v_add_co_u32_e32 v4, vcc, v4, v2
	v_addc_co_u32_e32 v5, vcc, 0, v5, vcc
	v_sub_co_u32_e32 v3, vcc, v3, v4
	v_subb_co_u32_e32 v5, vcc, v6, v5, vcc
	v_mov_b32_e32 v4, v1
	v_cmp_ne_u64_e32 vcc, 0, v[4:5]
                                        ; implicit-def: $vgpr6_vgpr7
	s_and_saveexec_b64 s[0:1], vcc
	s_xor_b64 s[8:9], exec, s[0:1]
	s_cbranch_execz .LBB24_3
; %bb.2:
	v_cvt_f32_u32_e32 v4, s13
	v_mov_b32_e32 v6, 0x4f800000
	s_sub_u32 s0, 0, s13
	s_subb_u32 s1, 0, 0
	v_mac_f32_e32 v4, 0, v6
	v_rcp_f32_e32 v4, v4
	v_mul_f32_e32 v4, 0x5f7ffffc, v4
	v_mul_f32_e32 v6, 0x2f800000, v4
	v_trunc_f32_e32 v6, v6
	v_madmk_f32 v4, v6, 0xcf800000, v4
	v_cvt_u32_f32_e32 v6, v6
	v_cvt_u32_f32_e32 v4, v4
	v_mul_lo_u32 v7, s0, v6
	v_mul_hi_u32 v9, s0, v4
	v_mul_lo_u32 v8, s1, v4
	v_add_u32_e32 v7, v9, v7
	v_mul_lo_u32 v10, s0, v4
	v_add_u32_e32 v7, v7, v8
	v_mul_hi_u32 v9, v4, v10
	v_mul_lo_u32 v11, v4, v7
	v_mul_hi_u32 v8, v4, v7
	v_add_co_u32_e32 v9, vcc, v9, v11
	v_addc_co_u32_e32 v8, vcc, 0, v8, vcc
	v_mul_hi_u32 v12, v6, v10
	v_mul_lo_u32 v10, v6, v10
	v_add_co_u32_e32 v9, vcc, v9, v10
	v_mul_hi_u32 v11, v6, v7
	v_addc_co_u32_e32 v8, vcc, v8, v12, vcc
	v_addc_co_u32_e32 v9, vcc, 0, v11, vcc
	v_mul_lo_u32 v7, v6, v7
	v_add_co_u32_e32 v7, vcc, v8, v7
	v_addc_co_u32_e32 v8, vcc, 0, v9, vcc
	v_add_co_u32_e32 v4, vcc, v4, v7
	v_addc_co_u32_e32 v6, vcc, v6, v8, vcc
	v_mul_lo_u32 v7, s0, v6
	v_mul_hi_u32 v8, s0, v4
	v_add_u32_e32 v7, v8, v7
	v_mul_lo_u32 v8, s1, v4
	v_add_u32_e32 v7, v7, v8
	v_mul_lo_u32 v9, s0, v4
	v_mul_hi_u32 v10, v6, v9
	v_mul_lo_u32 v11, v6, v9
	v_mul_lo_u32 v13, v4, v7
	v_mul_hi_u32 v9, v4, v9
	v_mul_hi_u32 v12, v4, v7
	v_add_co_u32_e32 v9, vcc, v9, v13
	v_addc_co_u32_e32 v12, vcc, 0, v12, vcc
	v_add_co_u32_e32 v9, vcc, v9, v11
	v_mul_hi_u32 v8, v6, v7
	v_addc_co_u32_e32 v9, vcc, v12, v10, vcc
	v_addc_co_u32_e32 v8, vcc, 0, v8, vcc
	v_mul_lo_u32 v7, v6, v7
	v_add_co_u32_e32 v7, vcc, v9, v7
	v_addc_co_u32_e32 v8, vcc, 0, v8, vcc
	v_add_co_u32_e32 v4, vcc, v4, v7
	v_addc_co_u32_e32 v8, vcc, v6, v8, vcc
	v_mad_u64_u32 v[6:7], s[0:1], v3, v8, 0
	v_mul_hi_u32 v9, v3, v4
	v_add_co_u32_e32 v10, vcc, v9, v6
	v_addc_co_u32_e32 v11, vcc, 0, v7, vcc
	v_mad_u64_u32 v[6:7], s[0:1], v5, v8, 0
	v_mad_u64_u32 v[8:9], s[0:1], v5, v4, 0
	v_add_co_u32_e32 v4, vcc, v10, v8
	v_addc_co_u32_e32 v4, vcc, v11, v9, vcc
	v_addc_co_u32_e32 v7, vcc, 0, v7, vcc
	v_add_co_u32_e32 v10, vcc, v4, v6
	v_addc_co_u32_e32 v11, vcc, 0, v7, vcc
	v_mad_u64_u32 v[6:7], s[0:1], s13, v10, 0
	v_mov_b32_e32 v4, v7
	v_mad_u64_u32 v[8:9], s[0:1], s13, v11, v[4:5]
	v_sub_co_u32_e32 v3, vcc, v3, v6
	v_subb_co_u32_e32 v4, vcc, v5, v8, vcc
	v_subrev_co_u32_e32 v5, vcc, s13, v3
	v_subbrev_co_u32_e32 v6, vcc, 0, v4, vcc
	v_cmp_le_u32_e32 vcc, s13, v5
	v_cndmask_b32_e64 v5, 0, -1, vcc
	v_cmp_eq_u32_e32 vcc, 0, v6
	v_cndmask_b32_e32 v5, -1, v5, vcc
	v_add_co_u32_e32 v6, vcc, 2, v10
	v_addc_co_u32_e32 v7, vcc, 0, v11, vcc
	v_add_co_u32_e32 v8, vcc, 1, v10
	v_cmp_le_u32_e64 s[0:1], s13, v3
	v_addc_co_u32_e32 v9, vcc, 0, v11, vcc
	v_cndmask_b32_e64 v3, 0, -1, s[0:1]
	v_cmp_eq_u32_e64 s[0:1], 0, v4
	v_cmp_ne_u32_e32 vcc, 0, v5
	v_cndmask_b32_e64 v3, -1, v3, s[0:1]
	v_cndmask_b32_e32 v5, v9, v7, vcc
	v_cmp_ne_u32_e64 s[0:1], 0, v3
	v_cndmask_b32_e32 v3, v8, v6, vcc
	v_cndmask_b32_e64 v7, v11, v5, s[0:1]
	v_cndmask_b32_e64 v6, v10, v3, s[0:1]
                                        ; implicit-def: $vgpr3
.LBB24_3:
	s_or_saveexec_b64 s[0:1], s[8:9]
	s_load_dwordx4 s[8:11], s[4:5], 0x0
	s_xor_b64 exec, exec, s[0:1]
	s_cbranch_execz .LBB24_5
; %bb.4:
	v_cvt_f32_u32_e32 v4, s13
	s_sub_i32 s4, 0, s13
	v_mov_b32_e32 v7, 0
	v_rcp_iflag_f32_e32 v4, v4
	v_mul_f32_e32 v4, 0x4f7ffffe, v4
	v_cvt_u32_f32_e32 v4, v4
	v_mul_lo_u32 v5, s4, v4
	v_mul_hi_u32 v5, v4, v5
	v_add_u32_e32 v4, v4, v5
	v_mul_hi_u32 v4, v3, v4
	v_mul_lo_u32 v5, v4, s13
	v_sub_u32_e32 v3, v3, v5
	v_add_u32_e32 v6, 1, v4
	v_subrev_u32_e32 v5, s13, v3
	v_cmp_le_u32_e32 vcc, s13, v3
	v_cndmask_b32_e32 v3, v3, v5, vcc
	v_cndmask_b32_e32 v4, v4, v6, vcc
	v_add_u32_e32 v5, 1, v4
	v_cmp_le_u32_e32 vcc, s13, v3
	v_cndmask_b32_e32 v6, v4, v5, vcc
.LBB24_5:
	s_or_b64 exec, exec, s[0:1]
	v_add_co_u32_e32 v2, vcc, v6, v2
	v_addc_co_u32_e32 v3, vcc, 0, v7, vcc
	v_add_co_u32_e32 v2, vcc, 1, v2
	s_mul_i32 s0, s3, s6
	s_mul_hi_u32 s15, s2, s6
	v_addc_co_u32_e32 v3, vcc, 0, v3, vcc
	s_add_i32 s15, s15, s0
	v_cmp_lt_u64_e32 vcc, 1, v[2:3]
	v_cmp_eq_u16_e64 s[0:1], s13, 1
	s_mul_i32 s16, s2, s6
	s_and_b64 s[6:7], vcc, s[0:1]
	s_mov_b64 s[0:1], -1
	s_and_saveexec_b64 s[4:5], s[6:7]
	s_cbranch_execz .LBB24_9
; %bb.6:
	v_mov_b32_e32 v7, s15
	v_add_co_u32_e32 v6, vcc, s16, v0
	v_and_b32_e32 v4, -2, v2
	v_mov_b32_e32 v5, v3
	v_addc_co_u32_e32 v7, vcc, 0, v7, vcc
	s_mov_b32 s0, 0
	v_lshlrev_b64 v[6:7], 2, v[6:7]
	s_lshl_b32 s17, s13, 3
	s_mov_b64 s[6:7], 0
	s_waitcnt lgkmcnt(0)
	v_mov_b32_e32 v12, s11
	s_mov_b32 s12, 0xbfd9db23
	s_mov_b32 s18, 0x3fb8aa3b
	;; [unrolled: 1-line block ×4, first 2 shown]
	v_mov_b32_e32 v13, 0x7f800000
	v_mov_b32_e32 v14, s9
	;; [unrolled: 1-line block ×3, first 2 shown]
	v_pk_mov_b32 v[8:9], v[4:5], v[4:5] op_sel:[0,1]
.LBB24_7:                               ; =>This Inner Loop Header: Depth=1
	v_add_co_u32_e32 v10, vcc, s10, v6
	v_addc_co_u32_e32 v11, vcc, v12, v7, vcc
	global_load_dwordx2 v[10:11], v[10:11], off
	v_add_co_u32_e32 v16, vcc, s8, v6
	v_addc_co_u32_e32 v17, vcc, v14, v7, vcc
	v_add_co_u32_e32 v8, vcc, -2, v8
	v_addc_co_u32_e32 v9, vcc, -1, v9, vcc
	v_add_co_u32_e32 v6, vcc, s17, v6
	v_addc_co_u32_e32 v7, vcc, v7, v15, vcc
	v_cmp_eq_u64_e32 vcc, 0, v[8:9]
	s_or_b64 s[6:7], vcc, s[6:7]
	s_waitcnt vmcnt(0)
	v_pk_mul_f32 v[18:19], v[10:11], s[12:13] op_sel_hi:[1,0]
	v_mul_f32_e32 v20, 0x3fb8aa3b, v19
	v_mul_f32_e32 v21, 0x3fb8aa3b, v18
	v_fma_f32 v22, v19, s18, -v20
	v_rndne_f32_e32 v23, v20
	v_fma_f32 v24, v18, s18, -v21
	v_rndne_f32_e32 v25, v21
	v_fmac_f32_e32 v22, 0x32a5705f, v19
	v_sub_f32_e32 v20, v20, v23
	v_fmac_f32_e32 v24, 0x32a5705f, v18
	v_sub_f32_e32 v21, v21, v25
	v_add_f32_e32 v20, v20, v22
	v_add_f32_e32 v21, v21, v24
	v_cvt_i32_f32_e32 v23, v23
	v_cvt_i32_f32_e32 v25, v25
	v_exp_f32_e32 v20, v20
	v_exp_f32_e32 v21, v21
	v_cmp_ngt_f32_e32 vcc, s19, v18
	v_cmp_ngt_f32_e64 s[0:1], s19, v19
	v_ldexp_f32 v20, v20, v23
	v_ldexp_f32 v21, v21, v25
	v_cndmask_b32_e64 v20, 0, v20, s[0:1]
	v_cndmask_b32_e32 v21, 0, v21, vcc
	v_cmp_nlt_f32_e32 vcc, s20, v18
	v_cmp_nlt_f32_e64 s[0:1], s20, v19
	v_cndmask_b32_e64 v19, v13, v20, s[0:1]
	v_cndmask_b32_e32 v18, v13, v21, vcc
	v_pk_add_f32 v[18:19], v[18:19], 1.0 op_sel_hi:[1,0]
	v_div_scale_f32 v20, s[0:1], v19, v19, v11
	v_div_scale_f32 v22, s[0:1], v18, v18, v10
	v_rcp_f32_e32 v24, v20
	v_rcp_f32_e32 v25, v22
	v_div_scale_f32 v21, vcc, v11, v19, v11
	v_fma_f32 v26, -v20, v24, 1.0
	v_fma_f32 v27, -v22, v25, 1.0
	v_fmac_f32_e32 v24, v26, v24
	v_div_scale_f32 v23, s[0:1], v10, v18, v10
	v_fmac_f32_e32 v25, v27, v25
	v_mul_f32_e32 v26, v21, v24
	v_mul_f32_e32 v27, v23, v25
	v_fma_f32 v28, -v20, v26, v21
	v_fma_f32 v29, -v22, v27, v23
	v_fmac_f32_e32 v26, v28, v24
	v_fmac_f32_e32 v27, v29, v25
	v_fma_f32 v20, -v20, v26, v21
	v_fma_f32 v21, -v22, v27, v23
	v_div_fmas_f32 v20, v20, v24, v26
	s_mov_b64 vcc, s[0:1]
	v_div_fixup_f32 v11, v20, v19, v11
	v_div_fmas_f32 v19, v21, v25, v27
	v_div_fixup_f32 v10, v19, v18, v10
	global_store_dwordx2 v[16:17], v[10:11], off
	s_andn2_b64 exec, exec, s[6:7]
	s_cbranch_execnz .LBB24_7
; %bb.8:
	s_or_b64 exec, exec, s[6:7]
	v_mad_u64_u32 v[0:1], s[0:1], v4, s13, v[0:1]
	v_mov_b32_e32 v6, v1
	v_mad_u64_u32 v[6:7], s[0:1], v5, s13, v[6:7]
	v_cmp_ne_u64_e32 vcc, v[2:3], v[4:5]
	v_mov_b32_e32 v1, v6
	s_orn2_b64 s[0:1], vcc, exec
.LBB24_9:
	s_or_b64 exec, exec, s[4:5]
	s_and_b64 exec, exec, s[0:1]
	s_cbranch_execz .LBB24_12
; %bb.10:
	v_mov_b32_e32 v3, s15
	v_add_co_u32_e32 v2, vcc, s16, v0
	v_addc_co_u32_e32 v3, vcc, v1, v3, vcc
	s_mov_b32 s12, 0
	v_lshlrev_b64 v[2:3], 2, v[2:3]
	s_lshl_b32 s4, s13, 2
	s_mov_b64 s[0:1], 0
	s_waitcnt lgkmcnt(0)
	v_mov_b32_e32 v4, s11
	s_mov_b32 s5, 0x3fb8aa3b
	s_mov_b32 s6, 0xc2ce8ed0
	;; [unrolled: 1-line block ×3, first 2 shown]
	v_mov_b32_e32 v5, 0x7f800000
	v_mov_b32_e32 v6, s9
	;; [unrolled: 1-line block ×4, first 2 shown]
.LBB24_11:                              ; =>This Inner Loop Header: Depth=1
	v_add_co_u32_e32 v10, vcc, s10, v2
	v_addc_co_u32_e32 v11, vcc, v4, v3, vcc
	global_load_dword v9, v[10:11], off
	v_add_co_u32_e32 v10, vcc, s8, v2
	v_addc_co_u32_e32 v11, vcc, v6, v3, vcc
	v_add_co_u32_e32 v0, vcc, s13, v0
	v_addc_co_u32_e32 v1, vcc, v1, v7, vcc
	;; [unrolled: 2-line block ×3, first 2 shown]
	v_cmp_le_i64_e32 vcc, s[2:3], v[0:1]
	s_or_b64 s[0:1], vcc, s[0:1]
	s_waitcnt vmcnt(0)
	v_mul_f32_e32 v12, 0xbfd9db23, v9
	v_mul_f32_e32 v13, 0x3fb8aa3b, v12
	v_fma_f32 v14, v12, s5, -v13
	v_rndne_f32_e32 v15, v13
	v_fmac_f32_e32 v14, 0x32a5705f, v12
	v_sub_f32_e32 v13, v13, v15
	v_add_f32_e32 v13, v13, v14
	v_cvt_i32_f32_e32 v15, v15
	v_exp_f32_e32 v13, v13
	v_cmp_ngt_f32_e32 vcc, s6, v12
	v_ldexp_f32 v13, v13, v15
	v_cndmask_b32_e32 v13, 0, v13, vcc
	v_cmp_nlt_f32_e32 vcc, s7, v12
	v_cndmask_b32_e32 v12, v5, v13, vcc
	v_add_f32_e32 v12, 1.0, v12
	v_div_scale_f32 v13, s[14:15], v12, v12, v9
	v_rcp_f32_e32 v14, v13
	v_div_scale_f32 v15, vcc, v9, v12, v9
	v_fma_f32 v16, -v13, v14, 1.0
	v_fmac_f32_e32 v14, v16, v14
	v_mul_f32_e32 v16, v15, v14
	v_fma_f32 v17, -v13, v16, v15
	v_fmac_f32_e32 v16, v17, v14
	v_fma_f32 v13, -v13, v16, v15
	v_div_fmas_f32 v13, v13, v14, v16
	v_div_fixup_f32 v9, v13, v12, v9
	global_store_dword v[10:11], v9, off
	s_andn2_b64 exec, exec, s[0:1]
	s_cbranch_execnz .LBB24_11
.LBB24_12:
	s_endpgm
	.section	.rodata,"a",@progbits
	.p2align	6, 0x0
	.amdhsa_kernel _ZN4vllm17activation_kernelIfTnPFT_RKS1_EXadL_ZNS_17gelu_quick_kernelIfEES1_S3_EEEEvPS1_PS2_i
		.amdhsa_group_segment_fixed_size 0
		.amdhsa_private_segment_fixed_size 0
		.amdhsa_kernarg_size 280
		.amdhsa_user_sgpr_count 6
		.amdhsa_user_sgpr_private_segment_buffer 1
		.amdhsa_user_sgpr_dispatch_ptr 0
		.amdhsa_user_sgpr_queue_ptr 0
		.amdhsa_user_sgpr_kernarg_segment_ptr 1
		.amdhsa_user_sgpr_dispatch_id 0
		.amdhsa_user_sgpr_flat_scratch_init 0
		.amdhsa_user_sgpr_kernarg_preload_length 0
		.amdhsa_user_sgpr_kernarg_preload_offset 0
		.amdhsa_user_sgpr_private_segment_size 0
		.amdhsa_uses_dynamic_stack 0
		.amdhsa_system_sgpr_private_segment_wavefront_offset 0
		.amdhsa_system_sgpr_workgroup_id_x 1
		.amdhsa_system_sgpr_workgroup_id_y 0
		.amdhsa_system_sgpr_workgroup_id_z 0
		.amdhsa_system_sgpr_workgroup_info 0
		.amdhsa_system_vgpr_workitem_id 0
		.amdhsa_next_free_vgpr 30
		.amdhsa_next_free_sgpr 21
		.amdhsa_accum_offset 32
		.amdhsa_reserve_vcc 1
		.amdhsa_reserve_flat_scratch 0
		.amdhsa_float_round_mode_32 0
		.amdhsa_float_round_mode_16_64 0
		.amdhsa_float_denorm_mode_32 3
		.amdhsa_float_denorm_mode_16_64 3
		.amdhsa_dx10_clamp 1
		.amdhsa_ieee_mode 1
		.amdhsa_fp16_overflow 0
		.amdhsa_tg_split 0
		.amdhsa_exception_fp_ieee_invalid_op 0
		.amdhsa_exception_fp_denorm_src 0
		.amdhsa_exception_fp_ieee_div_zero 0
		.amdhsa_exception_fp_ieee_overflow 0
		.amdhsa_exception_fp_ieee_underflow 0
		.amdhsa_exception_fp_ieee_inexact 0
		.amdhsa_exception_int_div_zero 0
	.end_amdhsa_kernel
	.section	.text._ZN4vllm17activation_kernelIfTnPFT_RKS1_EXadL_ZNS_17gelu_quick_kernelIfEES1_S3_EEEEvPS1_PS2_i,"axG",@progbits,_ZN4vllm17activation_kernelIfTnPFT_RKS1_EXadL_ZNS_17gelu_quick_kernelIfEES1_S3_EEEEvPS1_PS2_i,comdat
.Lfunc_end24:
	.size	_ZN4vllm17activation_kernelIfTnPFT_RKS1_EXadL_ZNS_17gelu_quick_kernelIfEES1_S3_EEEEvPS1_PS2_i, .Lfunc_end24-_ZN4vllm17activation_kernelIfTnPFT_RKS1_EXadL_ZNS_17gelu_quick_kernelIfEES1_S3_EEEEvPS1_PS2_i
                                        ; -- End function
	.section	.AMDGPU.csdata,"",@progbits
; Kernel info:
; codeLenInByte = 1696
; NumSgprs: 25
; NumVgprs: 30
; NumAgprs: 0
; TotalNumVgprs: 30
; ScratchSize: 0
; MemoryBound: 0
; FloatMode: 240
; IeeeMode: 1
; LDSByteSize: 0 bytes/workgroup (compile time only)
; SGPRBlocks: 3
; VGPRBlocks: 3
; NumSGPRsForWavesPerEU: 25
; NumVGPRsForWavesPerEU: 30
; AccumOffset: 32
; Occupancy: 8
; WaveLimiterHint : 0
; COMPUTE_PGM_RSRC2:SCRATCH_EN: 0
; COMPUTE_PGM_RSRC2:USER_SGPR: 6
; COMPUTE_PGM_RSRC2:TRAP_HANDLER: 0
; COMPUTE_PGM_RSRC2:TGID_X_EN: 1
; COMPUTE_PGM_RSRC2:TGID_Y_EN: 0
; COMPUTE_PGM_RSRC2:TGID_Z_EN: 0
; COMPUTE_PGM_RSRC2:TIDIG_COMP_CNT: 0
; COMPUTE_PGM_RSRC3_GFX90A:ACCUM_OFFSET: 7
; COMPUTE_PGM_RSRC3_GFX90A:TG_SPLIT: 0
	.section	.text._ZN4vllm17activation_kernelIN3c104HalfETnPFT_RKS3_EXadL_ZNS_17gelu_quick_kernelIS2_EES3_S5_EEEEvPS3_PS4_i,"axG",@progbits,_ZN4vllm17activation_kernelIN3c104HalfETnPFT_RKS3_EXadL_ZNS_17gelu_quick_kernelIS2_EES3_S5_EEEEvPS3_PS4_i,comdat
	.protected	_ZN4vllm17activation_kernelIN3c104HalfETnPFT_RKS3_EXadL_ZNS_17gelu_quick_kernelIS2_EES3_S5_EEEEvPS3_PS4_i ; -- Begin function _ZN4vllm17activation_kernelIN3c104HalfETnPFT_RKS3_EXadL_ZNS_17gelu_quick_kernelIS2_EES3_S5_EEEEvPS3_PS4_i
	.globl	_ZN4vllm17activation_kernelIN3c104HalfETnPFT_RKS3_EXadL_ZNS_17gelu_quick_kernelIS2_EES3_S5_EEEEvPS3_PS4_i
	.p2align	8
	.type	_ZN4vllm17activation_kernelIN3c104HalfETnPFT_RKS3_EXadL_ZNS_17gelu_quick_kernelIS2_EES3_S5_EEEEvPS3_PS4_i,@function
_ZN4vllm17activation_kernelIN3c104HalfETnPFT_RKS3_EXadL_ZNS_17gelu_quick_kernelIS2_EES3_S5_EEEEvPS3_PS4_i: ; @_ZN4vllm17activation_kernelIN3c104HalfETnPFT_RKS3_EXadL_ZNS_17gelu_quick_kernelIS2_EES3_S5_EEEEvPS3_PS4_i
; %bb.0:
	s_load_dword s12, s[4:5], 0x10
	s_waitcnt lgkmcnt(0)
	v_cmp_gt_i32_e32 vcc, s12, v0
	s_and_saveexec_b64 s[0:1], vcc
	s_cbranch_execz .LBB25_12
; %bb.1:
	s_load_dword s0, s[4:5], 0x24
	s_ashr_i32 s13, s12, 31
	v_mov_b32_e32 v2, s13
	v_mov_b32_e32 v1, 0
	s_mov_b32 s18, 0
	s_waitcnt lgkmcnt(0)
	s_and_b32 s17, s0, 0xffff
	v_add_co_u32_e32 v4, vcc, s17, v0
	v_addc_co_u32_e64 v5, s[0:1], 0, 0, vcc
	v_cmp_lt_i64_e32 vcc, s[12:13], v[4:5]
	v_cndmask_b32_e32 v6, v2, v5, vcc
	v_mov_b32_e32 v2, s12
	v_cndmask_b32_e32 v3, v2, v4, vcc
	v_cmp_gt_i64_e32 vcc, s[12:13], v[4:5]
	v_cndmask_b32_e64 v2, 0, 1, vcc
	v_add_co_u32_e32 v4, vcc, v4, v2
	v_addc_co_u32_e32 v5, vcc, 0, v5, vcc
	v_sub_co_u32_e32 v3, vcc, v3, v4
	v_subb_co_u32_e32 v5, vcc, v6, v5, vcc
	v_mov_b32_e32 v4, v1
	v_cmp_ne_u64_e32 vcc, 0, v[4:5]
                                        ; implicit-def: $vgpr6_vgpr7
	s_and_saveexec_b64 s[0:1], vcc
	s_xor_b64 s[2:3], exec, s[0:1]
	s_cbranch_execz .LBB25_3
; %bb.2:
	v_cvt_f32_u32_e32 v4, s17
	v_mov_b32_e32 v6, 0x4f800000
	s_sub_u32 s0, 0, s17
	s_subb_u32 s1, 0, 0
	v_mac_f32_e32 v4, 0, v6
	v_rcp_f32_e32 v4, v4
	v_mul_f32_e32 v4, 0x5f7ffffc, v4
	v_mul_f32_e32 v6, 0x2f800000, v4
	v_trunc_f32_e32 v6, v6
	v_madmk_f32 v4, v6, 0xcf800000, v4
	v_cvt_u32_f32_e32 v6, v6
	v_cvt_u32_f32_e32 v4, v4
	v_mul_lo_u32 v7, s0, v6
	v_mul_hi_u32 v9, s0, v4
	v_mul_lo_u32 v8, s1, v4
	v_add_u32_e32 v7, v9, v7
	v_mul_lo_u32 v10, s0, v4
	v_add_u32_e32 v7, v7, v8
	v_mul_hi_u32 v9, v4, v10
	v_mul_lo_u32 v11, v4, v7
	v_mul_hi_u32 v8, v4, v7
	v_add_co_u32_e32 v9, vcc, v9, v11
	v_addc_co_u32_e32 v8, vcc, 0, v8, vcc
	v_mul_hi_u32 v12, v6, v10
	v_mul_lo_u32 v10, v6, v10
	v_add_co_u32_e32 v9, vcc, v9, v10
	v_mul_hi_u32 v11, v6, v7
	v_addc_co_u32_e32 v8, vcc, v8, v12, vcc
	v_addc_co_u32_e32 v9, vcc, 0, v11, vcc
	v_mul_lo_u32 v7, v6, v7
	v_add_co_u32_e32 v7, vcc, v8, v7
	v_addc_co_u32_e32 v8, vcc, 0, v9, vcc
	v_add_co_u32_e32 v4, vcc, v4, v7
	v_addc_co_u32_e32 v6, vcc, v6, v8, vcc
	v_mul_lo_u32 v7, s0, v6
	v_mul_hi_u32 v8, s0, v4
	v_add_u32_e32 v7, v8, v7
	v_mul_lo_u32 v8, s1, v4
	v_add_u32_e32 v7, v7, v8
	v_mul_lo_u32 v9, s0, v4
	v_mul_hi_u32 v10, v6, v9
	v_mul_lo_u32 v11, v6, v9
	v_mul_lo_u32 v13, v4, v7
	v_mul_hi_u32 v9, v4, v9
	v_mul_hi_u32 v12, v4, v7
	v_add_co_u32_e32 v9, vcc, v9, v13
	v_addc_co_u32_e32 v12, vcc, 0, v12, vcc
	v_add_co_u32_e32 v9, vcc, v9, v11
	v_mul_hi_u32 v8, v6, v7
	v_addc_co_u32_e32 v9, vcc, v12, v10, vcc
	v_addc_co_u32_e32 v8, vcc, 0, v8, vcc
	v_mul_lo_u32 v7, v6, v7
	v_add_co_u32_e32 v7, vcc, v9, v7
	v_addc_co_u32_e32 v8, vcc, 0, v8, vcc
	v_add_co_u32_e32 v4, vcc, v4, v7
	v_addc_co_u32_e32 v8, vcc, v6, v8, vcc
	v_mad_u64_u32 v[6:7], s[0:1], v3, v8, 0
	v_mul_hi_u32 v9, v3, v4
	v_add_co_u32_e32 v10, vcc, v9, v6
	v_addc_co_u32_e32 v11, vcc, 0, v7, vcc
	v_mad_u64_u32 v[6:7], s[0:1], v5, v8, 0
	v_mad_u64_u32 v[8:9], s[0:1], v5, v4, 0
	v_add_co_u32_e32 v4, vcc, v10, v8
	v_addc_co_u32_e32 v4, vcc, v11, v9, vcc
	v_addc_co_u32_e32 v7, vcc, 0, v7, vcc
	v_add_co_u32_e32 v10, vcc, v4, v6
	v_addc_co_u32_e32 v11, vcc, 0, v7, vcc
	v_mad_u64_u32 v[6:7], s[0:1], s17, v10, 0
	v_mov_b32_e32 v4, v7
	v_mad_u64_u32 v[8:9], s[0:1], s17, v11, v[4:5]
	v_sub_co_u32_e32 v3, vcc, v3, v6
	v_subb_co_u32_e32 v4, vcc, v5, v8, vcc
	v_subrev_co_u32_e32 v5, vcc, s17, v3
	v_subbrev_co_u32_e32 v6, vcc, 0, v4, vcc
	v_cmp_le_u32_e32 vcc, s17, v5
	v_cndmask_b32_e64 v5, 0, -1, vcc
	v_cmp_eq_u32_e32 vcc, 0, v6
	v_cndmask_b32_e32 v5, -1, v5, vcc
	v_add_co_u32_e32 v6, vcc, 2, v10
	v_addc_co_u32_e32 v7, vcc, 0, v11, vcc
	v_add_co_u32_e32 v8, vcc, 1, v10
	v_cmp_le_u32_e64 s[0:1], s17, v3
	v_addc_co_u32_e32 v9, vcc, 0, v11, vcc
	v_cndmask_b32_e64 v3, 0, -1, s[0:1]
	v_cmp_eq_u32_e64 s[0:1], 0, v4
	v_cmp_ne_u32_e32 vcc, 0, v5
	v_cndmask_b32_e64 v3, -1, v3, s[0:1]
	v_cndmask_b32_e32 v5, v9, v7, vcc
	v_cmp_ne_u32_e64 s[0:1], 0, v3
	v_cndmask_b32_e32 v3, v8, v6, vcc
	v_cndmask_b32_e64 v7, v11, v5, s[0:1]
	v_cndmask_b32_e64 v6, v10, v3, s[0:1]
                                        ; implicit-def: $vgpr3
.LBB25_3:
	s_or_saveexec_b64 s[0:1], s[2:3]
	s_load_dwordx4 s[8:11], s[4:5], 0x0
	s_xor_b64 exec, exec, s[0:1]
	s_cbranch_execz .LBB25_5
; %bb.4:
	v_cvt_f32_u32_e32 v4, s17
	s_sub_i32 s2, 0, s17
	v_mov_b32_e32 v7, 0
	v_rcp_iflag_f32_e32 v4, v4
	v_mul_f32_e32 v4, 0x4f7ffffe, v4
	v_cvt_u32_f32_e32 v4, v4
	v_mul_lo_u32 v5, s2, v4
	v_mul_hi_u32 v5, v4, v5
	v_add_u32_e32 v4, v4, v5
	v_mul_hi_u32 v4, v3, v4
	v_mul_lo_u32 v5, v4, s17
	v_sub_u32_e32 v3, v3, v5
	v_add_u32_e32 v6, 1, v4
	v_subrev_u32_e32 v5, s17, v3
	v_cmp_le_u32_e32 vcc, s17, v3
	v_cndmask_b32_e32 v3, v3, v5, vcc
	v_cndmask_b32_e32 v4, v4, v6, vcc
	v_add_u32_e32 v5, 1, v4
	v_cmp_le_u32_e32 vcc, s17, v3
	v_cndmask_b32_e32 v6, v4, v5, vcc
.LBB25_5:
	s_or_b64 exec, exec, s[0:1]
	v_add_co_u32_e32 v2, vcc, v6, v2
	v_addc_co_u32_e32 v3, vcc, 0, v7, vcc
	v_add_co_u32_e32 v2, vcc, 1, v2
	s_mul_i32 s0, s13, s6
	s_mul_hi_u32 s19, s12, s6
	v_addc_co_u32_e32 v3, vcc, 0, v3, vcc
	s_add_i32 s19, s19, s0
	v_cmp_lt_u64_e32 vcc, 3, v[2:3]
	v_cmp_eq_u16_e64 s[0:1], s17, 1
	s_mul_i32 s20, s12, s6
	s_and_b64 s[2:3], vcc, s[0:1]
	s_mov_b64 s[0:1], -1
	s_and_saveexec_b64 s[6:7], s[2:3]
	s_cbranch_execz .LBB25_9
; %bb.6:
	v_mov_b32_e32 v7, s19
	v_add_co_u32_e32 v6, vcc, s20, v0
	v_and_b32_e32 v4, -4, v2
	v_mov_b32_e32 v5, v3
	v_addc_co_u32_e32 v7, vcc, 0, v7, vcc
	s_mov_b32 s0, 0
	v_lshlrev_b64 v[6:7], 1, v[6:7]
	s_lshl_b32 s21, s17, 3
	s_mov_b64 s[14:15], 0
	s_waitcnt lgkmcnt(0)
	v_mov_b32_e32 v14, s11
	s_mov_b32 s16, 0xbfd9db23
	s_mov_b32 s22, 0x3fb8aa3b
	;; [unrolled: 1-line block ×4, first 2 shown]
	v_mov_b32_e32 v15, 0x7f800000
	v_mov_b32_e32 v16, s9
	;; [unrolled: 1-line block ×3, first 2 shown]
	v_pk_mov_b32 v[8:9], v[4:5], v[4:5] op_sel:[0,1]
.LBB25_7:                               ; =>This Inner Loop Header: Depth=1
	v_add_co_u32_e32 v10, vcc, s10, v6
	v_addc_co_u32_e32 v11, vcc, v14, v7, vcc
	global_load_dwordx2 v[10:11], v[10:11], off
	v_add_co_u32_e32 v12, vcc, s8, v6
	v_addc_co_u32_e32 v13, vcc, v16, v7, vcc
	v_add_co_u32_e32 v8, vcc, -4, v8
	v_addc_co_u32_e32 v9, vcc, -1, v9, vcc
	v_add_co_u32_e32 v6, vcc, s21, v6
	v_addc_co_u32_e32 v7, vcc, v7, v17, vcc
	s_waitcnt vmcnt(0)
	v_cvt_f32_f16_e32 v18, v10
	v_cvt_f32_f16_sdwa v19, v10 dst_sel:DWORD dst_unused:UNUSED_PAD src0_sel:WORD_1
	v_cvt_f32_f16_e32 v20, v11
	v_cvt_f32_f16_sdwa v21, v11 dst_sel:DWORD dst_unused:UNUSED_PAD src0_sel:WORD_1
	v_pk_mul_f32 v[22:23], v[18:19], s[16:17] op_sel_hi:[1,0]
	v_mul_f32_e32 v24, 0x3fb8aa3b, v23
	v_pk_mul_f32 v[10:11], v[20:21], s[16:17] op_sel_hi:[1,0]
	v_mul_f32_e32 v25, 0x3fb8aa3b, v22
	v_mul_f32_e32 v26, 0x3fb8aa3b, v11
	;; [unrolled: 1-line block ×3, first 2 shown]
	v_fma_f32 v28, v23, s22, -v24
	v_rndne_f32_e32 v29, v24
	v_fma_f32 v30, v22, s22, -v25
	v_rndne_f32_e32 v31, v25
	v_fma_f32 v32, v11, s22, -v26
	v_rndne_f32_e32 v33, v26
	v_fma_f32 v34, v10, s22, -v27
	v_rndne_f32_e32 v35, v27
	v_fmac_f32_e32 v28, 0x32a5705f, v23
	v_sub_f32_e32 v24, v24, v29
	v_fmac_f32_e32 v30, 0x32a5705f, v22
	v_sub_f32_e32 v25, v25, v31
	;; [unrolled: 2-line block ×4, first 2 shown]
	v_add_f32_e32 v24, v24, v28
	v_add_f32_e32 v25, v25, v30
	v_cvt_i32_f32_e32 v29, v29
	v_cvt_i32_f32_e32 v31, v31
	v_add_f32_e32 v26, v26, v32
	v_add_f32_e32 v27, v27, v34
	v_exp_f32_e32 v24, v24
	v_exp_f32_e32 v25, v25
	v_cvt_i32_f32_e32 v33, v33
	v_cvt_i32_f32_e32 v35, v35
	v_exp_f32_e32 v26, v26
	v_exp_f32_e32 v27, v27
	v_ldexp_f32 v24, v24, v29
	v_ldexp_f32 v25, v25, v31
	v_cmp_ngt_f32_e32 vcc, s23, v22
	v_cmp_ngt_f32_e64 s[4:5], s23, v23
	v_ldexp_f32 v26, v26, v33
	v_cmp_ngt_f32_e64 s[0:1], s23, v11
	v_ldexp_f32 v27, v27, v35
	v_cmp_ngt_f32_e64 s[2:3], s23, v10
	v_cndmask_b32_e64 v24, 0, v24, s[4:5]
	v_cndmask_b32_e32 v25, 0, v25, vcc
	v_cmp_nlt_f32_e32 vcc, s24, v22
	v_cmp_nlt_f32_e64 s[4:5], s24, v23
	v_cndmask_b32_e64 v22, 0, v26, s[0:1]
	v_cmp_nlt_f32_e64 s[0:1], s24, v11
	v_cndmask_b32_e64 v26, 0, v27, s[2:3]
	;; [unrolled: 2-line block ×3, first 2 shown]
	v_cndmask_b32_e32 v10, v15, v25, vcc
	v_pk_add_f32 v[10:11], v[10:11], 1.0 op_sel_hi:[1,0]
	v_cndmask_b32_e64 v23, v15, v22, s[0:1]
	v_cndmask_b32_e64 v22, v15, v26, s[2:3]
	v_div_scale_f32 v24, s[0:1], v10, v10, v18
	v_pk_add_f32 v[22:23], v[22:23], 1.0 op_sel_hi:[1,0]
	v_div_scale_f32 v26, s[0:1], v11, v11, v19
	v_rcp_f32_e32 v32, v24
	v_div_scale_f32 v28, s[2:3], v22, v22, v20
	v_rcp_f32_e32 v33, v26
	;; [unrolled: 2-line block ×3, first 2 shown]
	v_rcp_f32_e32 v35, v30
	v_fma_f32 v36, -v24, v32, 1.0
	v_div_scale_f32 v25, vcc, v18, v10, v18
	v_fma_f32 v37, -v26, v33, 1.0
	v_fmac_f32_e32 v32, v36, v32
	v_div_scale_f32 v27, s[0:1], v19, v11, v19
	v_fma_f32 v38, -v28, v34, 1.0
	v_fmac_f32_e32 v33, v37, v33
	v_mul_f32_e32 v36, v25, v32
	v_div_scale_f32 v29, s[2:3], v20, v22, v20
	v_fma_f32 v39, -v30, v35, 1.0
	v_fmac_f32_e32 v34, v38, v34
	v_mul_f32_e32 v37, v27, v33
	v_fma_f32 v40, -v24, v36, v25
	v_div_scale_f32 v31, s[4:5], v21, v23, v21
	v_fmac_f32_e32 v35, v39, v35
	v_mul_f32_e32 v38, v29, v34
	v_fma_f32 v41, -v26, v37, v27
	v_fmac_f32_e32 v36, v40, v32
	v_mul_f32_e32 v39, v31, v35
	v_fma_f32 v42, -v28, v38, v29
	v_fmac_f32_e32 v37, v41, v33
	v_fma_f32 v24, -v24, v36, v25
	v_fma_f32 v43, -v30, v39, v31
	v_fmac_f32_e32 v38, v42, v34
	v_fma_f32 v25, -v26, v37, v27
	v_div_fmas_f32 v24, v24, v32, v36
	s_mov_b64 vcc, s[0:1]
	v_fmac_f32_e32 v39, v43, v35
	v_fma_f32 v26, -v28, v38, v29
	v_div_fixup_f32 v10, v24, v10, v18
	v_div_fmas_f32 v18, v25, v33, v37
	s_mov_b64 vcc, s[2:3]
	v_fma_f32 v27, -v30, v39, v31
	v_div_fixup_f32 v11, v18, v11, v19
	v_div_fmas_f32 v18, v26, v34, v38
	s_mov_b64 vcc, s[4:5]
	v_div_fmas_f32 v19, v27, v35, v39
	v_div_fixup_f32 v18, v18, v22, v20
	v_div_fixup_f32 v19, v19, v23, v21
	v_cvt_f16_f32_e32 v10, v10
	v_cvt_f16_f32_e32 v11, v11
	;; [unrolled: 1-line block ×4, first 2 shown]
	v_cmp_eq_u64_e32 vcc, 0, v[8:9]
	s_or_b64 s[14:15], vcc, s[14:15]
	v_pack_b32_f16 v10, v10, v11
	v_pack_b32_f16 v11, v18, v19
	global_store_dwordx2 v[12:13], v[10:11], off
	s_andn2_b64 exec, exec, s[14:15]
	s_cbranch_execnz .LBB25_7
; %bb.8:
	s_or_b64 exec, exec, s[14:15]
	v_mad_u64_u32 v[0:1], s[0:1], v4, s17, v[0:1]
	v_mov_b32_e32 v6, v1
	v_mad_u64_u32 v[6:7], s[0:1], v5, s17, v[6:7]
	v_cmp_ne_u64_e32 vcc, v[2:3], v[4:5]
	v_mov_b32_e32 v1, v6
	s_orn2_b64 s[0:1], vcc, exec
.LBB25_9:
	s_or_b64 exec, exec, s[6:7]
	s_and_b64 exec, exec, s[0:1]
	s_cbranch_execz .LBB25_12
; %bb.10:
	v_mov_b32_e32 v3, s19
	v_add_co_u32_e32 v2, vcc, s20, v0
	v_addc_co_u32_e32 v3, vcc, v1, v3, vcc
	s_mov_b32 s0, 0
	v_lshlrev_b64 v[2:3], 1, v[2:3]
	s_lshl_b32 s4, s17, 1
	s_mov_b64 s[2:3], 0
	s_waitcnt lgkmcnt(0)
	v_mov_b32_e32 v4, s11
	s_mov_b32 s5, 0x3fb8aa3b
	s_mov_b32 s6, 0xc2ce8ed0
	;; [unrolled: 1-line block ×3, first 2 shown]
	v_mov_b32_e32 v5, 0x7f800000
	v_mov_b32_e32 v6, s9
	;; [unrolled: 1-line block ×4, first 2 shown]
.LBB25_11:                              ; =>This Inner Loop Header: Depth=1
	v_add_co_u32_e32 v10, vcc, s10, v2
	v_addc_co_u32_e32 v11, vcc, v4, v3, vcc
	global_load_ushort v9, v[10:11], off
	v_add_co_u32_e32 v10, vcc, s8, v2
	v_addc_co_u32_e32 v11, vcc, v6, v3, vcc
	v_add_co_u32_e32 v0, vcc, s17, v0
	v_addc_co_u32_e32 v1, vcc, v1, v7, vcc
	v_add_co_u32_e64 v2, s[0:1], s4, v2
	s_waitcnt vmcnt(0)
	v_cvt_f32_f16_e32 v9, v9
	v_mul_f32_e32 v12, 0xbfd9db23, v9
	v_mul_f32_e32 v13, 0x3fb8aa3b, v12
	v_fma_f32 v14, v12, s5, -v13
	v_rndne_f32_e32 v15, v13
	v_fmac_f32_e32 v14, 0x32a5705f, v12
	v_sub_f32_e32 v13, v13, v15
	v_add_f32_e32 v13, v13, v14
	v_cvt_i32_f32_e32 v15, v15
	v_exp_f32_e32 v13, v13
	v_cmp_ngt_f32_e32 vcc, s6, v12
	v_ldexp_f32 v13, v13, v15
	v_cndmask_b32_e32 v13, 0, v13, vcc
	v_cmp_nlt_f32_e32 vcc, s7, v12
	v_cndmask_b32_e32 v12, v5, v13, vcc
	v_add_f32_e32 v12, 1.0, v12
	v_div_scale_f32 v13, s[14:15], v12, v12, v9
	v_rcp_f32_e32 v14, v13
	v_div_scale_f32 v15, vcc, v9, v12, v9
	v_fma_f32 v16, -v13, v14, 1.0
	v_fmac_f32_e32 v14, v16, v14
	v_mul_f32_e32 v16, v15, v14
	v_fma_f32 v17, -v13, v16, v15
	v_fmac_f32_e32 v16, v17, v14
	v_fma_f32 v13, -v13, v16, v15
	v_div_fmas_f32 v13, v13, v14, v16
	v_div_fixup_f32 v9, v13, v12, v9
	v_cvt_f16_f32_e32 v9, v9
	v_addc_co_u32_e64 v3, vcc, v3, v8, s[0:1]
	v_cmp_le_i64_e32 vcc, s[12:13], v[0:1]
	s_or_b64 s[2:3], vcc, s[2:3]
	global_store_short v[10:11], v9, off
	s_andn2_b64 exec, exec, s[2:3]
	s_cbranch_execnz .LBB25_11
.LBB25_12:
	s_endpgm
	.section	.rodata,"a",@progbits
	.p2align	6, 0x0
	.amdhsa_kernel _ZN4vllm17activation_kernelIN3c104HalfETnPFT_RKS3_EXadL_ZNS_17gelu_quick_kernelIS2_EES3_S5_EEEEvPS3_PS4_i
		.amdhsa_group_segment_fixed_size 0
		.amdhsa_private_segment_fixed_size 0
		.amdhsa_kernarg_size 280
		.amdhsa_user_sgpr_count 6
		.amdhsa_user_sgpr_private_segment_buffer 1
		.amdhsa_user_sgpr_dispatch_ptr 0
		.amdhsa_user_sgpr_queue_ptr 0
		.amdhsa_user_sgpr_kernarg_segment_ptr 1
		.amdhsa_user_sgpr_dispatch_id 0
		.amdhsa_user_sgpr_flat_scratch_init 0
		.amdhsa_user_sgpr_kernarg_preload_length 0
		.amdhsa_user_sgpr_kernarg_preload_offset 0
		.amdhsa_user_sgpr_private_segment_size 0
		.amdhsa_uses_dynamic_stack 0
		.amdhsa_system_sgpr_private_segment_wavefront_offset 0
		.amdhsa_system_sgpr_workgroup_id_x 1
		.amdhsa_system_sgpr_workgroup_id_y 0
		.amdhsa_system_sgpr_workgroup_id_z 0
		.amdhsa_system_sgpr_workgroup_info 0
		.amdhsa_system_vgpr_workitem_id 0
		.amdhsa_next_free_vgpr 44
		.amdhsa_next_free_sgpr 25
		.amdhsa_accum_offset 44
		.amdhsa_reserve_vcc 1
		.amdhsa_reserve_flat_scratch 0
		.amdhsa_float_round_mode_32 0
		.amdhsa_float_round_mode_16_64 0
		.amdhsa_float_denorm_mode_32 3
		.amdhsa_float_denorm_mode_16_64 3
		.amdhsa_dx10_clamp 1
		.amdhsa_ieee_mode 1
		.amdhsa_fp16_overflow 0
		.amdhsa_tg_split 0
		.amdhsa_exception_fp_ieee_invalid_op 0
		.amdhsa_exception_fp_denorm_src 0
		.amdhsa_exception_fp_ieee_div_zero 0
		.amdhsa_exception_fp_ieee_overflow 0
		.amdhsa_exception_fp_ieee_underflow 0
		.amdhsa_exception_fp_ieee_inexact 0
		.amdhsa_exception_int_div_zero 0
	.end_amdhsa_kernel
	.section	.text._ZN4vllm17activation_kernelIN3c104HalfETnPFT_RKS3_EXadL_ZNS_17gelu_quick_kernelIS2_EES3_S5_EEEEvPS3_PS4_i,"axG",@progbits,_ZN4vllm17activation_kernelIN3c104HalfETnPFT_RKS3_EXadL_ZNS_17gelu_quick_kernelIS2_EES3_S5_EEEEvPS3_PS4_i,comdat
.Lfunc_end25:
	.size	_ZN4vllm17activation_kernelIN3c104HalfETnPFT_RKS3_EXadL_ZNS_17gelu_quick_kernelIS2_EES3_S5_EEEEvPS3_PS4_i, .Lfunc_end25-_ZN4vllm17activation_kernelIN3c104HalfETnPFT_RKS3_EXadL_ZNS_17gelu_quick_kernelIS2_EES3_S5_EEEEvPS3_PS4_i
                                        ; -- End function
	.section	.AMDGPU.csdata,"",@progbits
; Kernel info:
; codeLenInByte = 2104
; NumSgprs: 29
; NumVgprs: 44
; NumAgprs: 0
; TotalNumVgprs: 44
; ScratchSize: 0
; MemoryBound: 0
; FloatMode: 240
; IeeeMode: 1
; LDSByteSize: 0 bytes/workgroup (compile time only)
; SGPRBlocks: 3
; VGPRBlocks: 5
; NumSGPRsForWavesPerEU: 29
; NumVGPRsForWavesPerEU: 44
; AccumOffset: 44
; Occupancy: 8
; WaveLimiterHint : 0
; COMPUTE_PGM_RSRC2:SCRATCH_EN: 0
; COMPUTE_PGM_RSRC2:USER_SGPR: 6
; COMPUTE_PGM_RSRC2:TRAP_HANDLER: 0
; COMPUTE_PGM_RSRC2:TGID_X_EN: 1
; COMPUTE_PGM_RSRC2:TGID_Y_EN: 0
; COMPUTE_PGM_RSRC2:TGID_Z_EN: 0
; COMPUTE_PGM_RSRC2:TIDIG_COMP_CNT: 0
; COMPUTE_PGM_RSRC3_GFX90A:ACCUM_OFFSET: 10
; COMPUTE_PGM_RSRC3_GFX90A:TG_SPLIT: 0
	.section	.text._ZN4vllm17activation_kernelIN3c108BFloat16ETnPFT_RKS3_EXadL_ZNS_17gelu_quick_kernelIS2_EES3_S5_EEEEvPS3_PS4_i,"axG",@progbits,_ZN4vllm17activation_kernelIN3c108BFloat16ETnPFT_RKS3_EXadL_ZNS_17gelu_quick_kernelIS2_EES3_S5_EEEEvPS3_PS4_i,comdat
	.protected	_ZN4vllm17activation_kernelIN3c108BFloat16ETnPFT_RKS3_EXadL_ZNS_17gelu_quick_kernelIS2_EES3_S5_EEEEvPS3_PS4_i ; -- Begin function _ZN4vllm17activation_kernelIN3c108BFloat16ETnPFT_RKS3_EXadL_ZNS_17gelu_quick_kernelIS2_EES3_S5_EEEEvPS3_PS4_i
	.globl	_ZN4vllm17activation_kernelIN3c108BFloat16ETnPFT_RKS3_EXadL_ZNS_17gelu_quick_kernelIS2_EES3_S5_EEEEvPS3_PS4_i
	.p2align	8
	.type	_ZN4vllm17activation_kernelIN3c108BFloat16ETnPFT_RKS3_EXadL_ZNS_17gelu_quick_kernelIS2_EES3_S5_EEEEvPS3_PS4_i,@function
_ZN4vllm17activation_kernelIN3c108BFloat16ETnPFT_RKS3_EXadL_ZNS_17gelu_quick_kernelIS2_EES3_S5_EEEEvPS3_PS4_i: ; @_ZN4vllm17activation_kernelIN3c108BFloat16ETnPFT_RKS3_EXadL_ZNS_17gelu_quick_kernelIS2_EES3_S5_EEEEvPS3_PS4_i
; %bb.0:
	s_load_dword s12, s[4:5], 0x10
	s_waitcnt lgkmcnt(0)
	v_cmp_gt_i32_e32 vcc, s12, v0
	s_and_saveexec_b64 s[0:1], vcc
	s_cbranch_execz .LBB26_12
; %bb.1:
	s_load_dword s0, s[4:5], 0x24
	s_ashr_i32 s13, s12, 31
	v_mov_b32_e32 v2, s13
	v_mov_b32_e32 v1, 0
	s_mov_b32 s18, 0
	s_waitcnt lgkmcnt(0)
	s_and_b32 s17, s0, 0xffff
	v_add_co_u32_e32 v4, vcc, s17, v0
	v_addc_co_u32_e64 v5, s[0:1], 0, 0, vcc
	v_cmp_lt_i64_e32 vcc, s[12:13], v[4:5]
	v_cndmask_b32_e32 v6, v2, v5, vcc
	v_mov_b32_e32 v2, s12
	v_cndmask_b32_e32 v3, v2, v4, vcc
	v_cmp_gt_i64_e32 vcc, s[12:13], v[4:5]
	v_cndmask_b32_e64 v2, 0, 1, vcc
	v_add_co_u32_e32 v4, vcc, v4, v2
	v_addc_co_u32_e32 v5, vcc, 0, v5, vcc
	v_sub_co_u32_e32 v3, vcc, v3, v4
	v_subb_co_u32_e32 v5, vcc, v6, v5, vcc
	v_mov_b32_e32 v4, v1
	v_cmp_ne_u64_e32 vcc, 0, v[4:5]
                                        ; implicit-def: $vgpr6_vgpr7
	s_and_saveexec_b64 s[0:1], vcc
	s_xor_b64 s[2:3], exec, s[0:1]
	s_cbranch_execz .LBB26_3
; %bb.2:
	v_cvt_f32_u32_e32 v4, s17
	v_mov_b32_e32 v6, 0x4f800000
	s_sub_u32 s0, 0, s17
	s_subb_u32 s1, 0, 0
	v_mac_f32_e32 v4, 0, v6
	v_rcp_f32_e32 v4, v4
	v_mul_f32_e32 v4, 0x5f7ffffc, v4
	v_mul_f32_e32 v6, 0x2f800000, v4
	v_trunc_f32_e32 v6, v6
	v_madmk_f32 v4, v6, 0xcf800000, v4
	v_cvt_u32_f32_e32 v6, v6
	v_cvt_u32_f32_e32 v4, v4
	v_mul_lo_u32 v7, s0, v6
	v_mul_hi_u32 v9, s0, v4
	v_mul_lo_u32 v8, s1, v4
	v_add_u32_e32 v7, v9, v7
	v_mul_lo_u32 v10, s0, v4
	v_add_u32_e32 v7, v7, v8
	v_mul_hi_u32 v9, v4, v10
	v_mul_lo_u32 v11, v4, v7
	v_mul_hi_u32 v8, v4, v7
	v_add_co_u32_e32 v9, vcc, v9, v11
	v_addc_co_u32_e32 v8, vcc, 0, v8, vcc
	v_mul_hi_u32 v12, v6, v10
	v_mul_lo_u32 v10, v6, v10
	v_add_co_u32_e32 v9, vcc, v9, v10
	v_mul_hi_u32 v11, v6, v7
	v_addc_co_u32_e32 v8, vcc, v8, v12, vcc
	v_addc_co_u32_e32 v9, vcc, 0, v11, vcc
	v_mul_lo_u32 v7, v6, v7
	v_add_co_u32_e32 v7, vcc, v8, v7
	v_addc_co_u32_e32 v8, vcc, 0, v9, vcc
	v_add_co_u32_e32 v4, vcc, v4, v7
	v_addc_co_u32_e32 v6, vcc, v6, v8, vcc
	v_mul_lo_u32 v7, s0, v6
	v_mul_hi_u32 v8, s0, v4
	v_add_u32_e32 v7, v8, v7
	v_mul_lo_u32 v8, s1, v4
	v_add_u32_e32 v7, v7, v8
	v_mul_lo_u32 v9, s0, v4
	v_mul_hi_u32 v10, v6, v9
	v_mul_lo_u32 v11, v6, v9
	v_mul_lo_u32 v13, v4, v7
	v_mul_hi_u32 v9, v4, v9
	v_mul_hi_u32 v12, v4, v7
	v_add_co_u32_e32 v9, vcc, v9, v13
	v_addc_co_u32_e32 v12, vcc, 0, v12, vcc
	v_add_co_u32_e32 v9, vcc, v9, v11
	v_mul_hi_u32 v8, v6, v7
	v_addc_co_u32_e32 v9, vcc, v12, v10, vcc
	v_addc_co_u32_e32 v8, vcc, 0, v8, vcc
	v_mul_lo_u32 v7, v6, v7
	v_add_co_u32_e32 v7, vcc, v9, v7
	v_addc_co_u32_e32 v8, vcc, 0, v8, vcc
	v_add_co_u32_e32 v4, vcc, v4, v7
	v_addc_co_u32_e32 v8, vcc, v6, v8, vcc
	v_mad_u64_u32 v[6:7], s[0:1], v3, v8, 0
	v_mul_hi_u32 v9, v3, v4
	v_add_co_u32_e32 v10, vcc, v9, v6
	v_addc_co_u32_e32 v11, vcc, 0, v7, vcc
	v_mad_u64_u32 v[6:7], s[0:1], v5, v8, 0
	v_mad_u64_u32 v[8:9], s[0:1], v5, v4, 0
	v_add_co_u32_e32 v4, vcc, v10, v8
	v_addc_co_u32_e32 v4, vcc, v11, v9, vcc
	v_addc_co_u32_e32 v7, vcc, 0, v7, vcc
	v_add_co_u32_e32 v10, vcc, v4, v6
	v_addc_co_u32_e32 v11, vcc, 0, v7, vcc
	v_mad_u64_u32 v[6:7], s[0:1], s17, v10, 0
	v_mov_b32_e32 v4, v7
	v_mad_u64_u32 v[8:9], s[0:1], s17, v11, v[4:5]
	v_sub_co_u32_e32 v3, vcc, v3, v6
	v_subb_co_u32_e32 v4, vcc, v5, v8, vcc
	v_subrev_co_u32_e32 v5, vcc, s17, v3
	v_subbrev_co_u32_e32 v6, vcc, 0, v4, vcc
	v_cmp_le_u32_e32 vcc, s17, v5
	v_cndmask_b32_e64 v5, 0, -1, vcc
	v_cmp_eq_u32_e32 vcc, 0, v6
	v_cndmask_b32_e32 v5, -1, v5, vcc
	v_add_co_u32_e32 v6, vcc, 2, v10
	v_addc_co_u32_e32 v7, vcc, 0, v11, vcc
	v_add_co_u32_e32 v8, vcc, 1, v10
	v_cmp_le_u32_e64 s[0:1], s17, v3
	v_addc_co_u32_e32 v9, vcc, 0, v11, vcc
	v_cndmask_b32_e64 v3, 0, -1, s[0:1]
	v_cmp_eq_u32_e64 s[0:1], 0, v4
	v_cmp_ne_u32_e32 vcc, 0, v5
	v_cndmask_b32_e64 v3, -1, v3, s[0:1]
	v_cndmask_b32_e32 v5, v9, v7, vcc
	v_cmp_ne_u32_e64 s[0:1], 0, v3
	v_cndmask_b32_e32 v3, v8, v6, vcc
	v_cndmask_b32_e64 v7, v11, v5, s[0:1]
	v_cndmask_b32_e64 v6, v10, v3, s[0:1]
                                        ; implicit-def: $vgpr3
.LBB26_3:
	s_or_saveexec_b64 s[0:1], s[2:3]
	s_load_dwordx4 s[8:11], s[4:5], 0x0
	s_xor_b64 exec, exec, s[0:1]
	s_cbranch_execz .LBB26_5
; %bb.4:
	v_cvt_f32_u32_e32 v4, s17
	s_sub_i32 s2, 0, s17
	v_mov_b32_e32 v7, 0
	v_rcp_iflag_f32_e32 v4, v4
	v_mul_f32_e32 v4, 0x4f7ffffe, v4
	v_cvt_u32_f32_e32 v4, v4
	v_mul_lo_u32 v5, s2, v4
	v_mul_hi_u32 v5, v4, v5
	v_add_u32_e32 v4, v4, v5
	v_mul_hi_u32 v4, v3, v4
	v_mul_lo_u32 v5, v4, s17
	v_sub_u32_e32 v3, v3, v5
	v_add_u32_e32 v6, 1, v4
	v_subrev_u32_e32 v5, s17, v3
	v_cmp_le_u32_e32 vcc, s17, v3
	v_cndmask_b32_e32 v3, v3, v5, vcc
	v_cndmask_b32_e32 v4, v4, v6, vcc
	v_add_u32_e32 v5, 1, v4
	v_cmp_le_u32_e32 vcc, s17, v3
	v_cndmask_b32_e32 v6, v4, v5, vcc
.LBB26_5:
	s_or_b64 exec, exec, s[0:1]
	v_add_co_u32_e32 v2, vcc, v6, v2
	v_addc_co_u32_e32 v3, vcc, 0, v7, vcc
	v_add_co_u32_e32 v2, vcc, 1, v2
	s_mul_i32 s0, s13, s6
	s_mul_hi_u32 s19, s12, s6
	v_addc_co_u32_e32 v3, vcc, 0, v3, vcc
	s_add_i32 s19, s19, s0
	v_cmp_lt_u64_e32 vcc, 3, v[2:3]
	v_cmp_eq_u16_e64 s[0:1], s17, 1
	s_mul_i32 s20, s12, s6
	s_and_b64 s[2:3], vcc, s[0:1]
	s_mov_b64 s[0:1], -1
	s_and_saveexec_b64 s[6:7], s[2:3]
	s_cbranch_execz .LBB26_9
; %bb.6:
	v_mov_b32_e32 v7, s19
	v_add_co_u32_e32 v6, vcc, s20, v0
	v_and_b32_e32 v4, -4, v2
	v_mov_b32_e32 v5, v3
	v_addc_co_u32_e32 v7, vcc, 0, v7, vcc
	s_mov_b32 s0, 0
	v_lshlrev_b64 v[6:7], 1, v[6:7]
	s_lshl_b32 s21, s17, 3
	s_mov_b64 s[14:15], 0
	s_waitcnt lgkmcnt(0)
	v_mov_b32_e32 v14, s11
	s_mov_b32 s16, 0xbfd9db23
	s_mov_b32 s22, 0x3fb8aa3b
	s_mov_b32 s23, 0xc2ce8ed0
	s_mov_b32 s24, 0x42b17218
	v_mov_b32_e32 v15, 0x7f800000
	s_movk_i32 s25, 0x7fff
	v_mov_b32_e32 v16, 0x7fc0
	s_mov_b32 s26, 0x5040100
	v_mov_b32_e32 v17, s9
	v_mov_b32_e32 v18, s0
	v_pk_mov_b32 v[8:9], v[4:5], v[4:5] op_sel:[0,1]
.LBB26_7:                               ; =>This Inner Loop Header: Depth=1
	v_add_co_u32_e32 v10, vcc, s10, v6
	v_addc_co_u32_e32 v11, vcc, v14, v7, vcc
	global_load_dwordx2 v[10:11], v[10:11], off
	v_add_co_u32_e32 v12, vcc, s8, v6
	v_addc_co_u32_e32 v13, vcc, v17, v7, vcc
	v_add_co_u32_e32 v8, vcc, -4, v8
	v_addc_co_u32_e32 v9, vcc, -1, v9, vcc
	v_add_co_u32_e32 v6, vcc, s21, v6
	v_addc_co_u32_e32 v7, vcc, v7, v18, vcc
	v_cmp_eq_u64_e32 vcc, 0, v[8:9]
	s_or_b64 s[14:15], vcc, s[14:15]
	s_waitcnt vmcnt(0)
	v_and_b32_e32 v21, 0xffff0000, v11
	v_lshlrev_b32_e32 v20, 16, v11
	v_and_b32_e32 v11, 0xffff0000, v10
	v_lshlrev_b32_e32 v10, 16, v10
	v_pk_mul_f32 v[24:25], v[20:21], s[16:17] op_sel_hi:[1,0]
	v_pk_mul_f32 v[22:23], v[10:11], s[16:17] op_sel_hi:[1,0]
	v_mul_f32_e32 v19, 0x3fb8aa3b, v25
	v_mul_f32_e32 v26, 0x3fb8aa3b, v24
	;; [unrolled: 1-line block ×4, first 2 shown]
	v_fma_f32 v29, v25, s22, -v19
	v_rndne_f32_e32 v30, v19
	v_fma_f32 v31, v24, s22, -v26
	v_rndne_f32_e32 v32, v26
	;; [unrolled: 2-line block ×4, first 2 shown]
	v_fmac_f32_e32 v29, 0x32a5705f, v25
	v_sub_f32_e32 v19, v19, v30
	v_fmac_f32_e32 v31, 0x32a5705f, v24
	v_sub_f32_e32 v26, v26, v32
	;; [unrolled: 2-line block ×4, first 2 shown]
	v_add_f32_e32 v19, v19, v29
	v_add_f32_e32 v26, v26, v31
	v_cvt_i32_f32_e32 v30, v30
	v_cvt_i32_f32_e32 v32, v32
	v_add_f32_e32 v27, v27, v33
	v_add_f32_e32 v28, v28, v35
	v_exp_f32_e32 v19, v19
	v_exp_f32_e32 v26, v26
	v_cvt_i32_f32_e32 v34, v34
	v_cvt_i32_f32_e32 v36, v36
	v_exp_f32_e32 v27, v27
	v_exp_f32_e32 v28, v28
	v_ldexp_f32 v19, v19, v30
	v_ldexp_f32 v26, v26, v32
	v_cmp_ngt_f32_e32 vcc, s23, v24
	v_cmp_ngt_f32_e64 s[4:5], s23, v25
	v_ldexp_f32 v27, v27, v34
	v_cmp_ngt_f32_e64 s[0:1], s23, v23
	v_ldexp_f32 v28, v28, v36
	v_cmp_ngt_f32_e64 s[2:3], s23, v22
	v_cndmask_b32_e64 v19, 0, v19, s[4:5]
	v_cndmask_b32_e32 v26, 0, v26, vcc
	v_cmp_nlt_f32_e32 vcc, s24, v24
	v_cmp_nlt_f32_e64 s[4:5], s24, v25
	v_cndmask_b32_e64 v24, 0, v27, s[0:1]
	v_cmp_nlt_f32_e64 s[0:1], s24, v23
	v_cndmask_b32_e64 v27, 0, v28, s[2:3]
	;; [unrolled: 2-line block ×3, first 2 shown]
	v_cndmask_b32_e32 v22, v15, v26, vcc
	v_pk_add_f32 v[22:23], v[22:23], 1.0 op_sel_hi:[1,0]
	v_cndmask_b32_e64 v25, v15, v24, s[0:1]
	v_cndmask_b32_e64 v24, v15, v27, s[2:3]
	v_div_scale_f32 v19, s[0:1], v23, v23, v21
	v_pk_add_f32 v[24:25], v[24:25], 1.0 op_sel_hi:[1,0]
	v_div_scale_f32 v27, s[0:1], v22, v22, v20
	v_rcp_f32_e32 v33, v19
	v_div_scale_f32 v29, s[2:3], v25, v25, v11
	v_rcp_f32_e32 v34, v27
	;; [unrolled: 2-line block ×3, first 2 shown]
	v_rcp_f32_e32 v36, v31
	v_fma_f32 v37, -v19, v33, 1.0
	v_div_scale_f32 v26, vcc, v21, v23, v21
	v_fma_f32 v38, -v27, v34, 1.0
	v_fmac_f32_e32 v33, v37, v33
	v_div_scale_f32 v28, s[0:1], v20, v22, v20
	v_fma_f32 v39, -v29, v35, 1.0
	v_fmac_f32_e32 v34, v38, v34
	v_mul_f32_e32 v37, v26, v33
	v_div_scale_f32 v30, s[2:3], v11, v25, v11
	v_fma_f32 v40, -v31, v36, 1.0
	v_fmac_f32_e32 v35, v39, v35
	v_mul_f32_e32 v38, v28, v34
	v_fma_f32 v41, -v19, v37, v26
	v_div_scale_f32 v32, s[4:5], v10, v24, v10
	v_fmac_f32_e32 v36, v40, v36
	v_mul_f32_e32 v39, v30, v35
	v_fma_f32 v42, -v27, v38, v28
	v_fmac_f32_e32 v37, v41, v33
	v_mul_f32_e32 v40, v32, v36
	v_fma_f32 v43, -v29, v39, v30
	v_fmac_f32_e32 v38, v42, v34
	v_fma_f32 v19, -v19, v37, v26
	v_fma_f32 v44, -v31, v40, v32
	v_fmac_f32_e32 v39, v43, v35
	v_fma_f32 v26, -v27, v38, v28
	v_div_fmas_f32 v19, v19, v33, v37
	s_mov_b64 vcc, s[0:1]
	v_fmac_f32_e32 v40, v44, v36
	v_fma_f32 v27, -v29, v39, v30
	v_div_fixup_f32 v19, v19, v23, v21
	v_div_fmas_f32 v21, v26, v34, v38
	s_mov_b64 vcc, s[2:3]
	v_fma_f32 v28, -v31, v40, v32
	v_div_fixup_f32 v20, v21, v22, v20
	v_div_fmas_f32 v21, v27, v35, v39
	v_bfe_u32 v22, v19, 16, 1
	s_mov_b64 vcc, s[4:5]
	v_div_fixup_f32 v11, v21, v25, v11
	v_div_fmas_f32 v21, v28, v36, v40
	v_bfe_u32 v23, v20, 16, 1
	v_add3_u32 v22, v19, v22, s25
	v_div_fixup_f32 v10, v21, v24, v10
	v_bfe_u32 v21, v11, 16, 1
	v_add3_u32 v23, v20, v23, s25
	v_lshrrev_b32_e32 v22, 16, v22
	v_cmp_o_f32_e32 vcc, v19, v19
	v_bfe_u32 v19, v10, 16, 1
	v_add3_u32 v21, v11, v21, s25
	v_lshrrev_b32_e32 v23, 16, v23
	v_cndmask_b32_e32 v22, v16, v22, vcc
	v_cmp_o_f32_e32 vcc, v20, v20
	v_add3_u32 v19, v10, v19, s25
	v_lshrrev_b32_e32 v20, 16, v21
	v_cndmask_b32_e32 v21, v16, v23, vcc
	v_cmp_o_f32_e32 vcc, v11, v11
	v_lshrrev_b32_e32 v19, 16, v19
	v_cndmask_b32_e32 v20, v16, v20, vcc
	v_cmp_o_f32_e32 vcc, v10, v10
	v_cndmask_b32_e32 v10, v16, v19, vcc
	v_perm_b32 v11, v22, v21, s26
	v_perm_b32 v10, v20, v10, s26
	global_store_dwordx2 v[12:13], v[10:11], off
	s_andn2_b64 exec, exec, s[14:15]
	s_cbranch_execnz .LBB26_7
; %bb.8:
	s_or_b64 exec, exec, s[14:15]
	v_mad_u64_u32 v[0:1], s[0:1], v4, s17, v[0:1]
	v_mov_b32_e32 v6, v1
	v_mad_u64_u32 v[6:7], s[0:1], v5, s17, v[6:7]
	v_cmp_ne_u64_e32 vcc, v[2:3], v[4:5]
	v_mov_b32_e32 v1, v6
	s_orn2_b64 s[0:1], vcc, exec
.LBB26_9:
	s_or_b64 exec, exec, s[6:7]
	s_and_b64 exec, exec, s[0:1]
	s_cbranch_execz .LBB26_12
; %bb.10:
	v_mov_b32_e32 v3, s19
	v_add_co_u32_e32 v2, vcc, s20, v0
	v_addc_co_u32_e32 v3, vcc, v1, v3, vcc
	s_mov_b32 s7, 0
	v_lshlrev_b64 v[2:3], 1, v[2:3]
	s_lshl_b32 s2, s17, 1
	s_mov_b64 s[0:1], 0
	s_waitcnt lgkmcnt(0)
	v_mov_b32_e32 v4, s11
	s_mov_b32 s3, 0x3fb8aa3b
	s_mov_b32 s4, 0xc2ce8ed0
	;; [unrolled: 1-line block ×3, first 2 shown]
	v_mov_b32_e32 v5, 0x7f800000
	s_movk_i32 s6, 0x7fff
	v_mov_b32_e32 v6, 0x7fc0
	v_mov_b32_e32 v7, s9
	;; [unrolled: 1-line block ×4, first 2 shown]
.LBB26_11:                              ; =>This Inner Loop Header: Depth=1
	v_add_co_u32_e32 v10, vcc, s10, v2
	v_addc_co_u32_e32 v11, vcc, v4, v3, vcc
	global_load_ushort v12, v[10:11], off
	v_add_co_u32_e32 v10, vcc, s8, v2
	v_addc_co_u32_e32 v11, vcc, v7, v3, vcc
	v_add_co_u32_e32 v0, vcc, s17, v0
	v_addc_co_u32_e32 v1, vcc, v1, v8, vcc
	;; [unrolled: 2-line block ×3, first 2 shown]
	v_cmp_le_i64_e32 vcc, s[12:13], v[0:1]
	s_or_b64 s[0:1], vcc, s[0:1]
	s_waitcnt vmcnt(0)
	v_lshlrev_b32_e32 v12, 16, v12
	v_mul_f32_e32 v13, 0xbfd9db23, v12
	v_mul_f32_e32 v14, 0x3fb8aa3b, v13
	v_fma_f32 v15, v13, s3, -v14
	v_rndne_f32_e32 v16, v14
	v_fmac_f32_e32 v15, 0x32a5705f, v13
	v_sub_f32_e32 v14, v14, v16
	v_add_f32_e32 v14, v14, v15
	v_cvt_i32_f32_e32 v16, v16
	v_exp_f32_e32 v14, v14
	v_cmp_ngt_f32_e32 vcc, s4, v13
	v_ldexp_f32 v14, v14, v16
	v_cndmask_b32_e32 v14, 0, v14, vcc
	v_cmp_nlt_f32_e32 vcc, s5, v13
	v_cndmask_b32_e32 v13, v5, v14, vcc
	v_add_f32_e32 v13, 1.0, v13
	v_div_scale_f32 v14, s[14:15], v13, v13, v12
	v_rcp_f32_e32 v15, v14
	v_div_scale_f32 v16, vcc, v12, v13, v12
	v_fma_f32 v17, -v14, v15, 1.0
	v_fmac_f32_e32 v15, v17, v15
	v_mul_f32_e32 v17, v16, v15
	v_fma_f32 v18, -v14, v17, v16
	v_fmac_f32_e32 v17, v18, v15
	v_fma_f32 v14, -v14, v17, v16
	v_div_fmas_f32 v14, v14, v15, v17
	v_div_fixup_f32 v12, v14, v13, v12
	v_bfe_u32 v13, v12, 16, 1
	v_add3_u32 v13, v12, v13, s6
	v_lshrrev_b32_e32 v13, 16, v13
	v_cmp_o_f32_e32 vcc, v12, v12
	v_cndmask_b32_e32 v12, v6, v13, vcc
	global_store_short v[10:11], v12, off
	s_andn2_b64 exec, exec, s[0:1]
	s_cbranch_execnz .LBB26_11
.LBB26_12:
	s_endpgm
	.section	.rodata,"a",@progbits
	.p2align	6, 0x0
	.amdhsa_kernel _ZN4vllm17activation_kernelIN3c108BFloat16ETnPFT_RKS3_EXadL_ZNS_17gelu_quick_kernelIS2_EES3_S5_EEEEvPS3_PS4_i
		.amdhsa_group_segment_fixed_size 0
		.amdhsa_private_segment_fixed_size 0
		.amdhsa_kernarg_size 280
		.amdhsa_user_sgpr_count 6
		.amdhsa_user_sgpr_private_segment_buffer 1
		.amdhsa_user_sgpr_dispatch_ptr 0
		.amdhsa_user_sgpr_queue_ptr 0
		.amdhsa_user_sgpr_kernarg_segment_ptr 1
		.amdhsa_user_sgpr_dispatch_id 0
		.amdhsa_user_sgpr_flat_scratch_init 0
		.amdhsa_user_sgpr_kernarg_preload_length 0
		.amdhsa_user_sgpr_kernarg_preload_offset 0
		.amdhsa_user_sgpr_private_segment_size 0
		.amdhsa_uses_dynamic_stack 0
		.amdhsa_system_sgpr_private_segment_wavefront_offset 0
		.amdhsa_system_sgpr_workgroup_id_x 1
		.amdhsa_system_sgpr_workgroup_id_y 0
		.amdhsa_system_sgpr_workgroup_id_z 0
		.amdhsa_system_sgpr_workgroup_info 0
		.amdhsa_system_vgpr_workitem_id 0
		.amdhsa_next_free_vgpr 45
		.amdhsa_next_free_sgpr 27
		.amdhsa_accum_offset 48
		.amdhsa_reserve_vcc 1
		.amdhsa_reserve_flat_scratch 0
		.amdhsa_float_round_mode_32 0
		.amdhsa_float_round_mode_16_64 0
		.amdhsa_float_denorm_mode_32 3
		.amdhsa_float_denorm_mode_16_64 3
		.amdhsa_dx10_clamp 1
		.amdhsa_ieee_mode 1
		.amdhsa_fp16_overflow 0
		.amdhsa_tg_split 0
		.amdhsa_exception_fp_ieee_invalid_op 0
		.amdhsa_exception_fp_denorm_src 0
		.amdhsa_exception_fp_ieee_div_zero 0
		.amdhsa_exception_fp_ieee_overflow 0
		.amdhsa_exception_fp_ieee_underflow 0
		.amdhsa_exception_fp_ieee_inexact 0
		.amdhsa_exception_int_div_zero 0
	.end_amdhsa_kernel
	.section	.text._ZN4vllm17activation_kernelIN3c108BFloat16ETnPFT_RKS3_EXadL_ZNS_17gelu_quick_kernelIS2_EES3_S5_EEEEvPS3_PS4_i,"axG",@progbits,_ZN4vllm17activation_kernelIN3c108BFloat16ETnPFT_RKS3_EXadL_ZNS_17gelu_quick_kernelIS2_EES3_S5_EEEEvPS3_PS4_i,comdat
.Lfunc_end26:
	.size	_ZN4vllm17activation_kernelIN3c108BFloat16ETnPFT_RKS3_EXadL_ZNS_17gelu_quick_kernelIS2_EES3_S5_EEEEvPS3_PS4_i, .Lfunc_end26-_ZN4vllm17activation_kernelIN3c108BFloat16ETnPFT_RKS3_EXadL_ZNS_17gelu_quick_kernelIS2_EES3_S5_EEEEvPS3_PS4_i
                                        ; -- End function
	.section	.AMDGPU.csdata,"",@progbits
; Kernel info:
; codeLenInByte = 2248
; NumSgprs: 31
; NumVgprs: 45
; NumAgprs: 0
; TotalNumVgprs: 45
; ScratchSize: 0
; MemoryBound: 0
; FloatMode: 240
; IeeeMode: 1
; LDSByteSize: 0 bytes/workgroup (compile time only)
; SGPRBlocks: 3
; VGPRBlocks: 5
; NumSGPRsForWavesPerEU: 31
; NumVGPRsForWavesPerEU: 45
; AccumOffset: 48
; Occupancy: 8
; WaveLimiterHint : 0
; COMPUTE_PGM_RSRC2:SCRATCH_EN: 0
; COMPUTE_PGM_RSRC2:USER_SGPR: 6
; COMPUTE_PGM_RSRC2:TRAP_HANDLER: 0
; COMPUTE_PGM_RSRC2:TGID_X_EN: 1
; COMPUTE_PGM_RSRC2:TGID_Y_EN: 0
; COMPUTE_PGM_RSRC2:TGID_Z_EN: 0
; COMPUTE_PGM_RSRC2:TIDIG_COMP_CNT: 0
; COMPUTE_PGM_RSRC3_GFX90A:ACCUM_OFFSET: 11
; COMPUTE_PGM_RSRC3_GFX90A:TG_SPLIT: 0
	.text
	.p2alignl 6, 3212836864
	.fill 256, 4, 3212836864
	.type	__hip_cuid_d854b6c2052ca9c3,@object ; @__hip_cuid_d854b6c2052ca9c3
	.section	.bss,"aw",@nobits
	.globl	__hip_cuid_d854b6c2052ca9c3
__hip_cuid_d854b6c2052ca9c3:
	.byte	0                               ; 0x0
	.size	__hip_cuid_d854b6c2052ca9c3, 1

	.ident	"AMD clang version 19.0.0git (https://github.com/RadeonOpenCompute/llvm-project roc-6.4.0 25133 c7fe45cf4b819c5991fe208aaa96edf142730f1d)"
	.section	".note.GNU-stack","",@progbits
	.addrsig
	.addrsig_sym __hip_cuid_d854b6c2052ca9c3
	.amdgpu_metadata
---
amdhsa.kernels:
  - .agpr_count:     0
    .args:
      - .actual_access:  write_only
        .address_space:  global
        .offset:         0
        .size:           8
        .value_kind:     global_buffer
      - .actual_access:  read_only
        .address_space:  global
        .offset:         8
        .size:           8
        .value_kind:     global_buffer
      - .offset:         16
        .size:           4
        .value_kind:     by_value
      - .offset:         24
        .size:           4
        .value_kind:     hidden_block_count_x
      - .offset:         28
        .size:           4
        .value_kind:     hidden_block_count_y
      - .offset:         32
        .size:           4
        .value_kind:     hidden_block_count_z
      - .offset:         36
        .size:           2
        .value_kind:     hidden_group_size_x
      - .offset:         38
        .size:           2
        .value_kind:     hidden_group_size_y
      - .offset:         40
        .size:           2
        .value_kind:     hidden_group_size_z
      - .offset:         42
        .size:           2
        .value_kind:     hidden_remainder_x
      - .offset:         44
        .size:           2
        .value_kind:     hidden_remainder_y
      - .offset:         46
        .size:           2
        .value_kind:     hidden_remainder_z
      - .offset:         64
        .size:           8
        .value_kind:     hidden_global_offset_x
      - .offset:         72
        .size:           8
        .value_kind:     hidden_global_offset_y
      - .offset:         80
        .size:           8
        .value_kind:     hidden_global_offset_z
      - .offset:         88
        .size:           2
        .value_kind:     hidden_grid_dims
    .group_segment_fixed_size: 0
    .kernarg_segment_align: 8
    .kernarg_segment_size: 280
    .language:       OpenCL C
    .language_version:
      - 2
      - 0
    .max_flat_workgroup_size: 1024
    .name:           _ZN4vllm18act_and_mul_kernelIfTnPFT_RKS1_EXadL_ZNS_11silu_kernelIfEES1_S3_EELb1EEEvPS1_PS2_i
    .private_segment_fixed_size: 0
    .sgpr_count:     24
    .sgpr_spill_count: 0
    .symbol:         _ZN4vllm18act_and_mul_kernelIfTnPFT_RKS1_EXadL_ZNS_11silu_kernelIfEES1_S3_EELb1EEEvPS1_PS2_i.kd
    .uniform_work_group_size: 1
    .uses_dynamic_stack: false
    .vgpr_count:     33
    .vgpr_spill_count: 0
    .wavefront_size: 64
  - .agpr_count:     0
    .args:
      - .actual_access:  write_only
        .address_space:  global
        .offset:         0
        .size:           8
        .value_kind:     global_buffer
      - .actual_access:  read_only
        .address_space:  global
        .offset:         8
        .size:           8
        .value_kind:     global_buffer
      - .offset:         16
        .size:           4
        .value_kind:     by_value
      - .offset:         24
        .size:           4
        .value_kind:     hidden_block_count_x
      - .offset:         28
        .size:           4
        .value_kind:     hidden_block_count_y
      - .offset:         32
        .size:           4
        .value_kind:     hidden_block_count_z
      - .offset:         36
        .size:           2
        .value_kind:     hidden_group_size_x
      - .offset:         38
        .size:           2
        .value_kind:     hidden_group_size_y
      - .offset:         40
        .size:           2
        .value_kind:     hidden_group_size_z
      - .offset:         42
        .size:           2
        .value_kind:     hidden_remainder_x
      - .offset:         44
        .size:           2
        .value_kind:     hidden_remainder_y
      - .offset:         46
        .size:           2
        .value_kind:     hidden_remainder_z
      - .offset:         64
        .size:           8
        .value_kind:     hidden_global_offset_x
      - .offset:         72
        .size:           8
        .value_kind:     hidden_global_offset_y
      - .offset:         80
        .size:           8
        .value_kind:     hidden_global_offset_z
      - .offset:         88
        .size:           2
        .value_kind:     hidden_grid_dims
    .group_segment_fixed_size: 0
    .kernarg_segment_align: 8
    .kernarg_segment_size: 280
    .language:       OpenCL C
    .language_version:
      - 2
      - 0
    .max_flat_workgroup_size: 1024
    .name:           _ZN4vllm18act_and_mul_kernelIN3c104HalfETnPFT_RKS3_EXadL_ZNS_11silu_kernelIS2_EES3_S5_EELb1EEEvPS3_PS4_i
    .private_segment_fixed_size: 0
    .sgpr_count:     31
    .sgpr_spill_count: 0
    .symbol:         _ZN4vllm18act_and_mul_kernelIN3c104HalfETnPFT_RKS3_EXadL_ZNS_11silu_kernelIS2_EES3_S5_EELb1EEEvPS3_PS4_i.kd
    .uniform_work_group_size: 1
    .uses_dynamic_stack: false
    .vgpr_count:     47
    .vgpr_spill_count: 0
    .wavefront_size: 64
  - .agpr_count:     0
    .args:
      - .actual_access:  write_only
        .address_space:  global
        .offset:         0
        .size:           8
        .value_kind:     global_buffer
      - .actual_access:  read_only
        .address_space:  global
        .offset:         8
        .size:           8
        .value_kind:     global_buffer
      - .offset:         16
        .size:           4
        .value_kind:     by_value
      - .offset:         24
        .size:           4
        .value_kind:     hidden_block_count_x
      - .offset:         28
        .size:           4
        .value_kind:     hidden_block_count_y
      - .offset:         32
        .size:           4
        .value_kind:     hidden_block_count_z
      - .offset:         36
        .size:           2
        .value_kind:     hidden_group_size_x
      - .offset:         38
        .size:           2
        .value_kind:     hidden_group_size_y
      - .offset:         40
        .size:           2
        .value_kind:     hidden_group_size_z
      - .offset:         42
        .size:           2
        .value_kind:     hidden_remainder_x
      - .offset:         44
        .size:           2
        .value_kind:     hidden_remainder_y
      - .offset:         46
        .size:           2
        .value_kind:     hidden_remainder_z
      - .offset:         64
        .size:           8
        .value_kind:     hidden_global_offset_x
      - .offset:         72
        .size:           8
        .value_kind:     hidden_global_offset_y
      - .offset:         80
        .size:           8
        .value_kind:     hidden_global_offset_z
      - .offset:         88
        .size:           2
        .value_kind:     hidden_grid_dims
    .group_segment_fixed_size: 0
    .kernarg_segment_align: 8
    .kernarg_segment_size: 280
    .language:       OpenCL C
    .language_version:
      - 2
      - 0
    .max_flat_workgroup_size: 1024
    .name:           _ZN4vllm18act_and_mul_kernelIN3c108BFloat16ETnPFT_RKS3_EXadL_ZNS_11silu_kernelIS2_EES3_S5_EELb1EEEvPS3_PS4_i
    .private_segment_fixed_size: 0
    .sgpr_count:     30
    .sgpr_spill_count: 0
    .symbol:         _ZN4vllm18act_and_mul_kernelIN3c108BFloat16ETnPFT_RKS3_EXadL_ZNS_11silu_kernelIS2_EES3_S5_EELb1EEEvPS3_PS4_i.kd
    .uniform_work_group_size: 1
    .uses_dynamic_stack: false
    .vgpr_count:     51
    .vgpr_spill_count: 0
    .wavefront_size: 64
  - .agpr_count:     0
    .args:
      - .actual_access:  write_only
        .address_space:  global
        .offset:         0
        .size:           8
        .value_kind:     global_buffer
      - .actual_access:  read_only
        .address_space:  global
        .offset:         8
        .size:           8
        .value_kind:     global_buffer
      - .offset:         16
        .size:           4
        .value_kind:     by_value
      - .offset:         24
        .size:           4
        .value_kind:     hidden_block_count_x
      - .offset:         28
        .size:           4
        .value_kind:     hidden_block_count_y
      - .offset:         32
        .size:           4
        .value_kind:     hidden_block_count_z
      - .offset:         36
        .size:           2
        .value_kind:     hidden_group_size_x
      - .offset:         38
        .size:           2
        .value_kind:     hidden_group_size_y
      - .offset:         40
        .size:           2
        .value_kind:     hidden_group_size_z
      - .offset:         42
        .size:           2
        .value_kind:     hidden_remainder_x
      - .offset:         44
        .size:           2
        .value_kind:     hidden_remainder_y
      - .offset:         46
        .size:           2
        .value_kind:     hidden_remainder_z
      - .offset:         64
        .size:           8
        .value_kind:     hidden_global_offset_x
      - .offset:         72
        .size:           8
        .value_kind:     hidden_global_offset_y
      - .offset:         80
        .size:           8
        .value_kind:     hidden_global_offset_z
      - .offset:         88
        .size:           2
        .value_kind:     hidden_grid_dims
    .group_segment_fixed_size: 0
    .kernarg_segment_align: 8
    .kernarg_segment_size: 280
    .language:       OpenCL C
    .language_version:
      - 2
      - 0
    .max_flat_workgroup_size: 1024
    .name:           _ZN4vllm18act_and_mul_kernelIfTnPFT_RKS1_EXadL_ZNS_11silu_kernelIfEES1_S3_EELb0EEEvPS1_PS2_i
    .private_segment_fixed_size: 0
    .sgpr_count:     24
    .sgpr_spill_count: 0
    .symbol:         _ZN4vllm18act_and_mul_kernelIfTnPFT_RKS1_EXadL_ZNS_11silu_kernelIfEES1_S3_EELb0EEEvPS1_PS2_i.kd
    .uniform_work_group_size: 1
    .uses_dynamic_stack: false
    .vgpr_count:     33
    .vgpr_spill_count: 0
    .wavefront_size: 64
  - .agpr_count:     0
    .args:
      - .actual_access:  write_only
        .address_space:  global
        .offset:         0
        .size:           8
        .value_kind:     global_buffer
      - .actual_access:  read_only
        .address_space:  global
        .offset:         8
        .size:           8
        .value_kind:     global_buffer
      - .offset:         16
        .size:           4
        .value_kind:     by_value
      - .offset:         24
        .size:           4
        .value_kind:     hidden_block_count_x
      - .offset:         28
        .size:           4
        .value_kind:     hidden_block_count_y
      - .offset:         32
        .size:           4
        .value_kind:     hidden_block_count_z
      - .offset:         36
        .size:           2
        .value_kind:     hidden_group_size_x
      - .offset:         38
        .size:           2
        .value_kind:     hidden_group_size_y
      - .offset:         40
        .size:           2
        .value_kind:     hidden_group_size_z
      - .offset:         42
        .size:           2
        .value_kind:     hidden_remainder_x
      - .offset:         44
        .size:           2
        .value_kind:     hidden_remainder_y
      - .offset:         46
        .size:           2
        .value_kind:     hidden_remainder_z
      - .offset:         64
        .size:           8
        .value_kind:     hidden_global_offset_x
      - .offset:         72
        .size:           8
        .value_kind:     hidden_global_offset_y
      - .offset:         80
        .size:           8
        .value_kind:     hidden_global_offset_z
      - .offset:         88
        .size:           2
        .value_kind:     hidden_grid_dims
    .group_segment_fixed_size: 0
    .kernarg_segment_align: 8
    .kernarg_segment_size: 280
    .language:       OpenCL C
    .language_version:
      - 2
      - 0
    .max_flat_workgroup_size: 1024
    .name:           _ZN4vllm18act_and_mul_kernelIN3c104HalfETnPFT_RKS3_EXadL_ZNS_11silu_kernelIS2_EES3_S5_EELb0EEEvPS3_PS4_i
    .private_segment_fixed_size: 0
    .sgpr_count:     31
    .sgpr_spill_count: 0
    .symbol:         _ZN4vllm18act_and_mul_kernelIN3c104HalfETnPFT_RKS3_EXadL_ZNS_11silu_kernelIS2_EES3_S5_EELb0EEEvPS3_PS4_i.kd
    .uniform_work_group_size: 1
    .uses_dynamic_stack: false
    .vgpr_count:     47
    .vgpr_spill_count: 0
    .wavefront_size: 64
  - .agpr_count:     0
    .args:
      - .actual_access:  write_only
        .address_space:  global
        .offset:         0
        .size:           8
        .value_kind:     global_buffer
      - .actual_access:  read_only
        .address_space:  global
        .offset:         8
        .size:           8
        .value_kind:     global_buffer
      - .offset:         16
        .size:           4
        .value_kind:     by_value
      - .offset:         24
        .size:           4
        .value_kind:     hidden_block_count_x
      - .offset:         28
        .size:           4
        .value_kind:     hidden_block_count_y
      - .offset:         32
        .size:           4
        .value_kind:     hidden_block_count_z
      - .offset:         36
        .size:           2
        .value_kind:     hidden_group_size_x
      - .offset:         38
        .size:           2
        .value_kind:     hidden_group_size_y
      - .offset:         40
        .size:           2
        .value_kind:     hidden_group_size_z
      - .offset:         42
        .size:           2
        .value_kind:     hidden_remainder_x
      - .offset:         44
        .size:           2
        .value_kind:     hidden_remainder_y
      - .offset:         46
        .size:           2
        .value_kind:     hidden_remainder_z
      - .offset:         64
        .size:           8
        .value_kind:     hidden_global_offset_x
      - .offset:         72
        .size:           8
        .value_kind:     hidden_global_offset_y
      - .offset:         80
        .size:           8
        .value_kind:     hidden_global_offset_z
      - .offset:         88
        .size:           2
        .value_kind:     hidden_grid_dims
    .group_segment_fixed_size: 0
    .kernarg_segment_align: 8
    .kernarg_segment_size: 280
    .language:       OpenCL C
    .language_version:
      - 2
      - 0
    .max_flat_workgroup_size: 1024
    .name:           _ZN4vllm18act_and_mul_kernelIN3c108BFloat16ETnPFT_RKS3_EXadL_ZNS_11silu_kernelIS2_EES3_S5_EELb0EEEvPS3_PS4_i
    .private_segment_fixed_size: 0
    .sgpr_count:     30
    .sgpr_spill_count: 0
    .symbol:         _ZN4vllm18act_and_mul_kernelIN3c108BFloat16ETnPFT_RKS3_EXadL_ZNS_11silu_kernelIS2_EES3_S5_EELb0EEEvPS3_PS4_i.kd
    .uniform_work_group_size: 1
    .uses_dynamic_stack: false
    .vgpr_count:     51
    .vgpr_spill_count: 0
    .wavefront_size: 64
  - .agpr_count:     0
    .args:
      - .actual_access:  write_only
        .address_space:  global
        .offset:         0
        .size:           8
        .value_kind:     global_buffer
      - .actual_access:  read_only
        .address_space:  global
        .offset:         8
        .size:           8
        .value_kind:     global_buffer
      - .offset:         16
        .size:           4
        .value_kind:     by_value
      - .offset:         24
        .size:           4
        .value_kind:     hidden_block_count_x
      - .offset:         28
        .size:           4
        .value_kind:     hidden_block_count_y
      - .offset:         32
        .size:           4
        .value_kind:     hidden_block_count_z
      - .offset:         36
        .size:           2
        .value_kind:     hidden_group_size_x
      - .offset:         38
        .size:           2
        .value_kind:     hidden_group_size_y
      - .offset:         40
        .size:           2
        .value_kind:     hidden_group_size_z
      - .offset:         42
        .size:           2
        .value_kind:     hidden_remainder_x
      - .offset:         44
        .size:           2
        .value_kind:     hidden_remainder_y
      - .offset:         46
        .size:           2
        .value_kind:     hidden_remainder_z
      - .offset:         64
        .size:           8
        .value_kind:     hidden_global_offset_x
      - .offset:         72
        .size:           8
        .value_kind:     hidden_global_offset_y
      - .offset:         80
        .size:           8
        .value_kind:     hidden_global_offset_z
      - .offset:         88
        .size:           2
        .value_kind:     hidden_grid_dims
    .group_segment_fixed_size: 0
    .kernarg_segment_align: 8
    .kernarg_segment_size: 280
    .language:       OpenCL C
    .language_version:
      - 2
      - 0
    .max_flat_workgroup_size: 1024
    .name:           _ZN4vllm18act_and_mul_kernelIfTnPFT_RKS1_EXadL_ZNS_11gelu_kernelIfEES1_S3_EELb1EEEvPS1_PS2_i
    .private_segment_fixed_size: 0
    .sgpr_count:     38
    .sgpr_spill_count: 0
    .symbol:         _ZN4vllm18act_and_mul_kernelIfTnPFT_RKS1_EXadL_ZNS_11gelu_kernelIfEES1_S3_EELb1EEEvPS1_PS2_i.kd
    .uniform_work_group_size: 1
    .uses_dynamic_stack: false
    .vgpr_count:     35
    .vgpr_spill_count: 0
    .wavefront_size: 64
  - .agpr_count:     0
    .args:
      - .actual_access:  write_only
        .address_space:  global
        .offset:         0
        .size:           8
        .value_kind:     global_buffer
      - .actual_access:  read_only
        .address_space:  global
        .offset:         8
        .size:           8
        .value_kind:     global_buffer
      - .offset:         16
        .size:           4
        .value_kind:     by_value
      - .offset:         24
        .size:           4
        .value_kind:     hidden_block_count_x
      - .offset:         28
        .size:           4
        .value_kind:     hidden_block_count_y
      - .offset:         32
        .size:           4
        .value_kind:     hidden_block_count_z
      - .offset:         36
        .size:           2
        .value_kind:     hidden_group_size_x
      - .offset:         38
        .size:           2
        .value_kind:     hidden_group_size_y
      - .offset:         40
        .size:           2
        .value_kind:     hidden_group_size_z
      - .offset:         42
        .size:           2
        .value_kind:     hidden_remainder_x
      - .offset:         44
        .size:           2
        .value_kind:     hidden_remainder_y
      - .offset:         46
        .size:           2
        .value_kind:     hidden_remainder_z
      - .offset:         64
        .size:           8
        .value_kind:     hidden_global_offset_x
      - .offset:         72
        .size:           8
        .value_kind:     hidden_global_offset_y
      - .offset:         80
        .size:           8
        .value_kind:     hidden_global_offset_z
      - .offset:         88
        .size:           2
        .value_kind:     hidden_grid_dims
    .group_segment_fixed_size: 0
    .kernarg_segment_align: 8
    .kernarg_segment_size: 280
    .language:       OpenCL C
    .language_version:
      - 2
      - 0
    .max_flat_workgroup_size: 1024
    .name:           _ZN4vllm18act_and_mul_kernelIN3c104HalfETnPFT_RKS3_EXadL_ZNS_11gelu_kernelIS2_EES3_S5_EELb1EEEvPS3_PS4_i
    .private_segment_fixed_size: 0
    .sgpr_count:     44
    .sgpr_spill_count: 0
    .symbol:         _ZN4vllm18act_and_mul_kernelIN3c104HalfETnPFT_RKS3_EXadL_ZNS_11gelu_kernelIS2_EES3_S5_EELb1EEEvPS3_PS4_i.kd
    .uniform_work_group_size: 1
    .uses_dynamic_stack: false
    .vgpr_count:     51
    .vgpr_spill_count: 0
    .wavefront_size: 64
  - .agpr_count:     0
    .args:
      - .actual_access:  write_only
        .address_space:  global
        .offset:         0
        .size:           8
        .value_kind:     global_buffer
      - .actual_access:  read_only
        .address_space:  global
        .offset:         8
        .size:           8
        .value_kind:     global_buffer
      - .offset:         16
        .size:           4
        .value_kind:     by_value
      - .offset:         24
        .size:           4
        .value_kind:     hidden_block_count_x
      - .offset:         28
        .size:           4
        .value_kind:     hidden_block_count_y
      - .offset:         32
        .size:           4
        .value_kind:     hidden_block_count_z
      - .offset:         36
        .size:           2
        .value_kind:     hidden_group_size_x
      - .offset:         38
        .size:           2
        .value_kind:     hidden_group_size_y
      - .offset:         40
        .size:           2
        .value_kind:     hidden_group_size_z
      - .offset:         42
        .size:           2
        .value_kind:     hidden_remainder_x
      - .offset:         44
        .size:           2
        .value_kind:     hidden_remainder_y
      - .offset:         46
        .size:           2
        .value_kind:     hidden_remainder_z
      - .offset:         64
        .size:           8
        .value_kind:     hidden_global_offset_x
      - .offset:         72
        .size:           8
        .value_kind:     hidden_global_offset_y
      - .offset:         80
        .size:           8
        .value_kind:     hidden_global_offset_z
      - .offset:         88
        .size:           2
        .value_kind:     hidden_grid_dims
    .group_segment_fixed_size: 0
    .kernarg_segment_align: 8
    .kernarg_segment_size: 280
    .language:       OpenCL C
    .language_version:
      - 2
      - 0
    .max_flat_workgroup_size: 1024
    .name:           _ZN4vllm18act_and_mul_kernelIN3c108BFloat16ETnPFT_RKS3_EXadL_ZNS_11gelu_kernelIS2_EES3_S5_EELb1EEEvPS3_PS4_i
    .private_segment_fixed_size: 0
    .sgpr_count:     44
    .sgpr_spill_count: 0
    .symbol:         _ZN4vllm18act_and_mul_kernelIN3c108BFloat16ETnPFT_RKS3_EXadL_ZNS_11gelu_kernelIS2_EES3_S5_EELb1EEEvPS3_PS4_i.kd
    .uniform_work_group_size: 1
    .uses_dynamic_stack: false
    .vgpr_count:     55
    .vgpr_spill_count: 0
    .wavefront_size: 64
  - .agpr_count:     0
    .args:
      - .actual_access:  write_only
        .address_space:  global
        .offset:         0
        .size:           8
        .value_kind:     global_buffer
      - .actual_access:  read_only
        .address_space:  global
        .offset:         8
        .size:           8
        .value_kind:     global_buffer
      - .offset:         16
        .size:           4
        .value_kind:     by_value
      - .offset:         24
        .size:           4
        .value_kind:     hidden_block_count_x
      - .offset:         28
        .size:           4
        .value_kind:     hidden_block_count_y
      - .offset:         32
        .size:           4
        .value_kind:     hidden_block_count_z
      - .offset:         36
        .size:           2
        .value_kind:     hidden_group_size_x
      - .offset:         38
        .size:           2
        .value_kind:     hidden_group_size_y
      - .offset:         40
        .size:           2
        .value_kind:     hidden_group_size_z
      - .offset:         42
        .size:           2
        .value_kind:     hidden_remainder_x
      - .offset:         44
        .size:           2
        .value_kind:     hidden_remainder_y
      - .offset:         46
        .size:           2
        .value_kind:     hidden_remainder_z
      - .offset:         64
        .size:           8
        .value_kind:     hidden_global_offset_x
      - .offset:         72
        .size:           8
        .value_kind:     hidden_global_offset_y
      - .offset:         80
        .size:           8
        .value_kind:     hidden_global_offset_z
      - .offset:         88
        .size:           2
        .value_kind:     hidden_grid_dims
    .group_segment_fixed_size: 0
    .kernarg_segment_align: 8
    .kernarg_segment_size: 280
    .language:       OpenCL C
    .language_version:
      - 2
      - 0
    .max_flat_workgroup_size: 1024
    .name:           _ZN4vllm18act_and_mul_kernelIfTnPFT_RKS1_EXadL_ZNS_16gelu_tanh_kernelIfEES1_S3_EELb1EEEvPS1_PS2_i
    .private_segment_fixed_size: 0
    .sgpr_count:     22
    .sgpr_spill_count: 0
    .symbol:         _ZN4vllm18act_and_mul_kernelIfTnPFT_RKS1_EXadL_ZNS_16gelu_tanh_kernelIfEES1_S3_EELb1EEEvPS1_PS2_i.kd
    .uniform_work_group_size: 1
    .uses_dynamic_stack: false
    .vgpr_count:     20
    .vgpr_spill_count: 0
    .wavefront_size: 64
  - .agpr_count:     0
    .args:
      - .actual_access:  write_only
        .address_space:  global
        .offset:         0
        .size:           8
        .value_kind:     global_buffer
      - .actual_access:  read_only
        .address_space:  global
        .offset:         8
        .size:           8
        .value_kind:     global_buffer
      - .offset:         16
        .size:           4
        .value_kind:     by_value
      - .offset:         24
        .size:           4
        .value_kind:     hidden_block_count_x
      - .offset:         28
        .size:           4
        .value_kind:     hidden_block_count_y
      - .offset:         32
        .size:           4
        .value_kind:     hidden_block_count_z
      - .offset:         36
        .size:           2
        .value_kind:     hidden_group_size_x
      - .offset:         38
        .size:           2
        .value_kind:     hidden_group_size_y
      - .offset:         40
        .size:           2
        .value_kind:     hidden_group_size_z
      - .offset:         42
        .size:           2
        .value_kind:     hidden_remainder_x
      - .offset:         44
        .size:           2
        .value_kind:     hidden_remainder_y
      - .offset:         46
        .size:           2
        .value_kind:     hidden_remainder_z
      - .offset:         64
        .size:           8
        .value_kind:     hidden_global_offset_x
      - .offset:         72
        .size:           8
        .value_kind:     hidden_global_offset_y
      - .offset:         80
        .size:           8
        .value_kind:     hidden_global_offset_z
      - .offset:         88
        .size:           2
        .value_kind:     hidden_grid_dims
    .group_segment_fixed_size: 0
    .kernarg_segment_align: 8
    .kernarg_segment_size: 280
    .language:       OpenCL C
    .language_version:
      - 2
      - 0
    .max_flat_workgroup_size: 1024
    .name:           _ZN4vllm18act_and_mul_kernelIN3c104HalfETnPFT_RKS3_EXadL_ZNS_16gelu_tanh_kernelIS2_EES3_S5_EELb1EEEvPS3_PS4_i
    .private_segment_fixed_size: 0
    .sgpr_count:     24
    .sgpr_spill_count: 0
    .symbol:         _ZN4vllm18act_and_mul_kernelIN3c104HalfETnPFT_RKS3_EXadL_ZNS_16gelu_tanh_kernelIS2_EES3_S5_EELb1EEEvPS3_PS4_i.kd
    .uniform_work_group_size: 1
    .uses_dynamic_stack: false
    .vgpr_count:     20
    .vgpr_spill_count: 0
    .wavefront_size: 64
  - .agpr_count:     0
    .args:
      - .actual_access:  write_only
        .address_space:  global
        .offset:         0
        .size:           8
        .value_kind:     global_buffer
      - .actual_access:  read_only
        .address_space:  global
        .offset:         8
        .size:           8
        .value_kind:     global_buffer
      - .offset:         16
        .size:           4
        .value_kind:     by_value
      - .offset:         24
        .size:           4
        .value_kind:     hidden_block_count_x
      - .offset:         28
        .size:           4
        .value_kind:     hidden_block_count_y
      - .offset:         32
        .size:           4
        .value_kind:     hidden_block_count_z
      - .offset:         36
        .size:           2
        .value_kind:     hidden_group_size_x
      - .offset:         38
        .size:           2
        .value_kind:     hidden_group_size_y
      - .offset:         40
        .size:           2
        .value_kind:     hidden_group_size_z
      - .offset:         42
        .size:           2
        .value_kind:     hidden_remainder_x
      - .offset:         44
        .size:           2
        .value_kind:     hidden_remainder_y
      - .offset:         46
        .size:           2
        .value_kind:     hidden_remainder_z
      - .offset:         64
        .size:           8
        .value_kind:     hidden_global_offset_x
      - .offset:         72
        .size:           8
        .value_kind:     hidden_global_offset_y
      - .offset:         80
        .size:           8
        .value_kind:     hidden_global_offset_z
      - .offset:         88
        .size:           2
        .value_kind:     hidden_grid_dims
    .group_segment_fixed_size: 0
    .kernarg_segment_align: 8
    .kernarg_segment_size: 280
    .language:       OpenCL C
    .language_version:
      - 2
      - 0
    .max_flat_workgroup_size: 1024
    .name:           _ZN4vllm18act_and_mul_kernelIN3c108BFloat16ETnPFT_RKS3_EXadL_ZNS_16gelu_tanh_kernelIS2_EES3_S5_EELb1EEEvPS3_PS4_i
    .private_segment_fixed_size: 0
    .sgpr_count:     24
    .sgpr_spill_count: 0
    .symbol:         _ZN4vllm18act_and_mul_kernelIN3c108BFloat16ETnPFT_RKS3_EXadL_ZNS_16gelu_tanh_kernelIS2_EES3_S5_EELb1EEEvPS3_PS4_i.kd
    .uniform_work_group_size: 1
    .uses_dynamic_stack: false
    .vgpr_count:     22
    .vgpr_spill_count: 0
    .wavefront_size: 64
  - .agpr_count:     0
    .args:
      - .actual_access:  write_only
        .address_space:  global
        .offset:         0
        .size:           8
        .value_kind:     global_buffer
      - .actual_access:  read_only
        .address_space:  global
        .offset:         8
        .size:           8
        .value_kind:     global_buffer
      - .offset:         16
        .size:           4
        .value_kind:     by_value
      - .offset:         20
        .size:           4
        .value_kind:     by_value
      - .offset:         24
        .size:           4
        .value_kind:     hidden_block_count_x
      - .offset:         28
        .size:           4
        .value_kind:     hidden_block_count_y
      - .offset:         32
        .size:           4
        .value_kind:     hidden_block_count_z
      - .offset:         36
        .size:           2
        .value_kind:     hidden_group_size_x
      - .offset:         38
        .size:           2
        .value_kind:     hidden_group_size_y
      - .offset:         40
        .size:           2
        .value_kind:     hidden_group_size_z
      - .offset:         42
        .size:           2
        .value_kind:     hidden_remainder_x
      - .offset:         44
        .size:           2
        .value_kind:     hidden_remainder_y
      - .offset:         46
        .size:           2
        .value_kind:     hidden_remainder_z
      - .offset:         64
        .size:           8
        .value_kind:     hidden_global_offset_x
      - .offset:         72
        .size:           8
        .value_kind:     hidden_global_offset_y
      - .offset:         80
        .size:           8
        .value_kind:     hidden_global_offset_z
      - .offset:         88
        .size:           2
        .value_kind:     hidden_grid_dims
    .group_segment_fixed_size: 0
    .kernarg_segment_align: 8
    .kernarg_segment_size: 280
    .language:       OpenCL C
    .language_version:
      - 2
      - 0
    .max_flat_workgroup_size: 1024
    .name:           _ZN4vllm29act_and_mul_kernel_with_paramIfTnPFT_RKS1_fEXadL_ZNS_14fatrelu_kernelIfEES1_S3_fEEEEvPS1_PS2_if
    .private_segment_fixed_size: 0
    .sgpr_count:     22
    .sgpr_spill_count: 0
    .symbol:         _ZN4vllm29act_and_mul_kernel_with_paramIfTnPFT_RKS1_fEXadL_ZNS_14fatrelu_kernelIfEES1_S3_fEEEEvPS1_PS2_if.kd
    .uniform_work_group_size: 1
    .uses_dynamic_stack: false
    .vgpr_count:     22
    .vgpr_spill_count: 0
    .wavefront_size: 64
  - .agpr_count:     0
    .args:
      - .actual_access:  write_only
        .address_space:  global
        .offset:         0
        .size:           8
        .value_kind:     global_buffer
      - .actual_access:  read_only
        .address_space:  global
        .offset:         8
        .size:           8
        .value_kind:     global_buffer
      - .offset:         16
        .size:           4
        .value_kind:     by_value
      - .offset:         20
        .size:           4
        .value_kind:     by_value
      - .offset:         24
        .size:           4
        .value_kind:     hidden_block_count_x
      - .offset:         28
        .size:           4
        .value_kind:     hidden_block_count_y
      - .offset:         32
        .size:           4
        .value_kind:     hidden_block_count_z
      - .offset:         36
        .size:           2
        .value_kind:     hidden_group_size_x
      - .offset:         38
        .size:           2
        .value_kind:     hidden_group_size_y
      - .offset:         40
        .size:           2
        .value_kind:     hidden_group_size_z
      - .offset:         42
        .size:           2
        .value_kind:     hidden_remainder_x
      - .offset:         44
        .size:           2
        .value_kind:     hidden_remainder_y
      - .offset:         46
        .size:           2
        .value_kind:     hidden_remainder_z
      - .offset:         64
        .size:           8
        .value_kind:     hidden_global_offset_x
      - .offset:         72
        .size:           8
        .value_kind:     hidden_global_offset_y
      - .offset:         80
        .size:           8
        .value_kind:     hidden_global_offset_z
      - .offset:         88
        .size:           2
        .value_kind:     hidden_grid_dims
    .group_segment_fixed_size: 0
    .kernarg_segment_align: 8
    .kernarg_segment_size: 280
    .language:       OpenCL C
    .language_version:
      - 2
      - 0
    .max_flat_workgroup_size: 1024
    .name:           _ZN4vllm29act_and_mul_kernel_with_paramIN3c104HalfETnPFT_RKS3_fEXadL_ZNS_14fatrelu_kernelIS2_EES3_S5_fEEEEvPS3_PS4_if
    .private_segment_fixed_size: 0
    .sgpr_count:     25
    .sgpr_spill_count: 0
    .symbol:         _ZN4vllm29act_and_mul_kernel_with_paramIN3c104HalfETnPFT_RKS3_fEXadL_ZNS_14fatrelu_kernelIS2_EES3_S5_fEEEEvPS3_PS4_if.kd
    .uniform_work_group_size: 1
    .uses_dynamic_stack: false
    .vgpr_count:     26
    .vgpr_spill_count: 0
    .wavefront_size: 64
  - .agpr_count:     0
    .args:
      - .actual_access:  write_only
        .address_space:  global
        .offset:         0
        .size:           8
        .value_kind:     global_buffer
      - .actual_access:  read_only
        .address_space:  global
        .offset:         8
        .size:           8
        .value_kind:     global_buffer
      - .offset:         16
        .size:           4
        .value_kind:     by_value
      - .offset:         20
        .size:           4
        .value_kind:     by_value
      - .offset:         24
        .size:           4
        .value_kind:     hidden_block_count_x
      - .offset:         28
        .size:           4
        .value_kind:     hidden_block_count_y
      - .offset:         32
        .size:           4
        .value_kind:     hidden_block_count_z
      - .offset:         36
        .size:           2
        .value_kind:     hidden_group_size_x
      - .offset:         38
        .size:           2
        .value_kind:     hidden_group_size_y
      - .offset:         40
        .size:           2
        .value_kind:     hidden_group_size_z
      - .offset:         42
        .size:           2
        .value_kind:     hidden_remainder_x
      - .offset:         44
        .size:           2
        .value_kind:     hidden_remainder_y
      - .offset:         46
        .size:           2
        .value_kind:     hidden_remainder_z
      - .offset:         64
        .size:           8
        .value_kind:     hidden_global_offset_x
      - .offset:         72
        .size:           8
        .value_kind:     hidden_global_offset_y
      - .offset:         80
        .size:           8
        .value_kind:     hidden_global_offset_z
      - .offset:         88
        .size:           2
        .value_kind:     hidden_grid_dims
    .group_segment_fixed_size: 0
    .kernarg_segment_align: 8
    .kernarg_segment_size: 280
    .language:       OpenCL C
    .language_version:
      - 2
      - 0
    .max_flat_workgroup_size: 1024
    .name:           _ZN4vllm29act_and_mul_kernel_with_paramIN3c108BFloat16ETnPFT_RKS3_fEXadL_ZNS_14fatrelu_kernelIS2_EES3_S5_fEEEEvPS3_PS4_if
    .private_segment_fixed_size: 0
    .sgpr_count:     31
    .sgpr_spill_count: 0
    .symbol:         _ZN4vllm29act_and_mul_kernel_with_paramIN3c108BFloat16ETnPFT_RKS3_fEXadL_ZNS_14fatrelu_kernelIS2_EES3_S5_fEEEEvPS3_PS4_if.kd
    .uniform_work_group_size: 1
    .uses_dynamic_stack: false
    .vgpr_count:     30
    .vgpr_spill_count: 0
    .wavefront_size: 64
  - .agpr_count:     0
    .args:
      - .actual_access:  write_only
        .address_space:  global
        .offset:         0
        .size:           8
        .value_kind:     global_buffer
      - .actual_access:  read_only
        .address_space:  global
        .offset:         8
        .size:           8
        .value_kind:     global_buffer
      - .offset:         16
        .size:           4
        .value_kind:     by_value
      - .offset:         20
        .size:           4
        .value_kind:     by_value
      - .offset:         24
        .size:           4
        .value_kind:     by_value
      - .offset:         32
        .size:           4
        .value_kind:     hidden_block_count_x
      - .offset:         36
        .size:           4
        .value_kind:     hidden_block_count_y
      - .offset:         40
        .size:           4
        .value_kind:     hidden_block_count_z
      - .offset:         44
        .size:           2
        .value_kind:     hidden_group_size_x
      - .offset:         46
        .size:           2
        .value_kind:     hidden_group_size_y
      - .offset:         48
        .size:           2
        .value_kind:     hidden_group_size_z
      - .offset:         50
        .size:           2
        .value_kind:     hidden_remainder_x
      - .offset:         52
        .size:           2
        .value_kind:     hidden_remainder_y
      - .offset:         54
        .size:           2
        .value_kind:     hidden_remainder_z
      - .offset:         72
        .size:           8
        .value_kind:     hidden_global_offset_x
      - .offset:         80
        .size:           8
        .value_kind:     hidden_global_offset_y
      - .offset:         88
        .size:           8
        .value_kind:     hidden_global_offset_z
      - .offset:         96
        .size:           2
        .value_kind:     hidden_grid_dims
    .group_segment_fixed_size: 0
    .kernarg_segment_align: 8
    .kernarg_segment_size: 288
    .language:       OpenCL C
    .language_version:
      - 2
      - 0
    .max_flat_workgroup_size: 1024
    .name:           _ZN4vllm24swigluoai_and_mul_kernelIfTnPFT_RKS1_S3_ffEXadL_ZNS_17swigluoai_and_mulIfEES1_S3_S3_ffEEEEvPS1_PS2_iff
    .private_segment_fixed_size: 0
    .sgpr_count:     34
    .sgpr_spill_count: 0
    .symbol:         _ZN4vllm24swigluoai_and_mul_kernelIfTnPFT_RKS1_S3_ffEXadL_ZNS_17swigluoai_and_mulIfEES1_S3_S3_ffEEEEvPS1_PS2_iff.kd
    .uniform_work_group_size: 1
    .uses_dynamic_stack: false
    .vgpr_count:     39
    .vgpr_spill_count: 0
    .wavefront_size: 64
  - .agpr_count:     0
    .args:
      - .actual_access:  write_only
        .address_space:  global
        .offset:         0
        .size:           8
        .value_kind:     global_buffer
      - .actual_access:  read_only
        .address_space:  global
        .offset:         8
        .size:           8
        .value_kind:     global_buffer
      - .offset:         16
        .size:           4
        .value_kind:     by_value
      - .offset:         20
        .size:           4
        .value_kind:     by_value
      - .offset:         24
        .size:           4
        .value_kind:     by_value
      - .offset:         32
        .size:           4
        .value_kind:     hidden_block_count_x
      - .offset:         36
        .size:           4
        .value_kind:     hidden_block_count_y
      - .offset:         40
        .size:           4
        .value_kind:     hidden_block_count_z
      - .offset:         44
        .size:           2
        .value_kind:     hidden_group_size_x
      - .offset:         46
        .size:           2
        .value_kind:     hidden_group_size_y
      - .offset:         48
        .size:           2
        .value_kind:     hidden_group_size_z
      - .offset:         50
        .size:           2
        .value_kind:     hidden_remainder_x
      - .offset:         52
        .size:           2
        .value_kind:     hidden_remainder_y
      - .offset:         54
        .size:           2
        .value_kind:     hidden_remainder_z
      - .offset:         72
        .size:           8
        .value_kind:     hidden_global_offset_x
      - .offset:         80
        .size:           8
        .value_kind:     hidden_global_offset_y
      - .offset:         88
        .size:           8
        .value_kind:     hidden_global_offset_z
      - .offset:         96
        .size:           2
        .value_kind:     hidden_grid_dims
    .group_segment_fixed_size: 0
    .kernarg_segment_align: 8
    .kernarg_segment_size: 288
    .language:       OpenCL C
    .language_version:
      - 2
      - 0
    .max_flat_workgroup_size: 1024
    .name:           _ZN4vllm24swigluoai_and_mul_kernelIN3c104HalfETnPFT_RKS3_S5_ffEXadL_ZNS_17swigluoai_and_mulIS2_EES3_S5_S5_ffEEEEvPS3_PS4_iff
    .private_segment_fixed_size: 0
    .sgpr_count:     54
    .sgpr_spill_count: 0
    .symbol:         _ZN4vllm24swigluoai_and_mul_kernelIN3c104HalfETnPFT_RKS3_S5_ffEXadL_ZNS_17swigluoai_and_mulIS2_EES3_S5_S5_ffEEEEvPS3_PS4_iff.kd
    .uniform_work_group_size: 1
    .uses_dynamic_stack: false
    .vgpr_count:     53
    .vgpr_spill_count: 0
    .wavefront_size: 64
  - .agpr_count:     0
    .args:
      - .actual_access:  write_only
        .address_space:  global
        .offset:         0
        .size:           8
        .value_kind:     global_buffer
      - .actual_access:  read_only
        .address_space:  global
        .offset:         8
        .size:           8
        .value_kind:     global_buffer
      - .offset:         16
        .size:           4
        .value_kind:     by_value
      - .offset:         20
        .size:           4
        .value_kind:     by_value
      - .offset:         24
        .size:           4
        .value_kind:     by_value
      - .offset:         32
        .size:           4
        .value_kind:     hidden_block_count_x
      - .offset:         36
        .size:           4
        .value_kind:     hidden_block_count_y
      - .offset:         40
        .size:           4
        .value_kind:     hidden_block_count_z
      - .offset:         44
        .size:           2
        .value_kind:     hidden_group_size_x
      - .offset:         46
        .size:           2
        .value_kind:     hidden_group_size_y
      - .offset:         48
        .size:           2
        .value_kind:     hidden_group_size_z
      - .offset:         50
        .size:           2
        .value_kind:     hidden_remainder_x
      - .offset:         52
        .size:           2
        .value_kind:     hidden_remainder_y
      - .offset:         54
        .size:           2
        .value_kind:     hidden_remainder_z
      - .offset:         72
        .size:           8
        .value_kind:     hidden_global_offset_x
      - .offset:         80
        .size:           8
        .value_kind:     hidden_global_offset_y
      - .offset:         88
        .size:           8
        .value_kind:     hidden_global_offset_z
      - .offset:         96
        .size:           2
        .value_kind:     hidden_grid_dims
    .group_segment_fixed_size: 0
    .kernarg_segment_align: 8
    .kernarg_segment_size: 288
    .language:       OpenCL C
    .language_version:
      - 2
      - 0
    .max_flat_workgroup_size: 1024
    .name:           _ZN4vllm24swigluoai_and_mul_kernelIN3c108BFloat16ETnPFT_RKS3_S5_ffEXadL_ZNS_17swigluoai_and_mulIS2_EES3_S5_S5_ffEEEEvPS3_PS4_iff
    .private_segment_fixed_size: 0
    .sgpr_count:     56
    .sgpr_spill_count: 0
    .symbol:         _ZN4vllm24swigluoai_and_mul_kernelIN3c108BFloat16ETnPFT_RKS3_S5_ffEXadL_ZNS_17swigluoai_and_mulIS2_EES3_S5_S5_ffEEEEvPS3_PS4_iff.kd
    .uniform_work_group_size: 1
    .uses_dynamic_stack: false
    .vgpr_count:     54
    .vgpr_spill_count: 0
    .wavefront_size: 64
  - .agpr_count:     0
    .args:
      - .actual_access:  write_only
        .address_space:  global
        .offset:         0
        .size:           8
        .value_kind:     global_buffer
      - .actual_access:  read_only
        .address_space:  global
        .offset:         8
        .size:           8
        .value_kind:     global_buffer
      - .offset:         16
        .size:           4
        .value_kind:     by_value
      - .offset:         24
        .size:           4
        .value_kind:     hidden_block_count_x
      - .offset:         28
        .size:           4
        .value_kind:     hidden_block_count_y
      - .offset:         32
        .size:           4
        .value_kind:     hidden_block_count_z
      - .offset:         36
        .size:           2
        .value_kind:     hidden_group_size_x
      - .offset:         38
        .size:           2
        .value_kind:     hidden_group_size_y
      - .offset:         40
        .size:           2
        .value_kind:     hidden_group_size_z
      - .offset:         42
        .size:           2
        .value_kind:     hidden_remainder_x
      - .offset:         44
        .size:           2
        .value_kind:     hidden_remainder_y
      - .offset:         46
        .size:           2
        .value_kind:     hidden_remainder_z
      - .offset:         64
        .size:           8
        .value_kind:     hidden_global_offset_x
      - .offset:         72
        .size:           8
        .value_kind:     hidden_global_offset_y
      - .offset:         80
        .size:           8
        .value_kind:     hidden_global_offset_z
      - .offset:         88
        .size:           2
        .value_kind:     hidden_grid_dims
    .group_segment_fixed_size: 0
    .kernarg_segment_align: 8
    .kernarg_segment_size: 280
    .language:       OpenCL C
    .language_version:
      - 2
      - 0
    .max_flat_workgroup_size: 1024
    .name:           _ZN4vllm17activation_kernelIfTnPFT_RKS1_EXadL_ZNS_15gelu_new_kernelIfEES1_S3_EEEEvPS1_PS2_i
    .private_segment_fixed_size: 0
    .sgpr_count:     22
    .sgpr_spill_count: 0
    .symbol:         _ZN4vllm17activation_kernelIfTnPFT_RKS1_EXadL_ZNS_15gelu_new_kernelIfEES1_S3_EEEEvPS1_PS2_i.kd
    .uniform_work_group_size: 1
    .uses_dynamic_stack: false
    .vgpr_count:     18
    .vgpr_spill_count: 0
    .wavefront_size: 64
  - .agpr_count:     0
    .args:
      - .actual_access:  write_only
        .address_space:  global
        .offset:         0
        .size:           8
        .value_kind:     global_buffer
      - .actual_access:  read_only
        .address_space:  global
        .offset:         8
        .size:           8
        .value_kind:     global_buffer
      - .offset:         16
        .size:           4
        .value_kind:     by_value
      - .offset:         24
        .size:           4
        .value_kind:     hidden_block_count_x
      - .offset:         28
        .size:           4
        .value_kind:     hidden_block_count_y
      - .offset:         32
        .size:           4
        .value_kind:     hidden_block_count_z
      - .offset:         36
        .size:           2
        .value_kind:     hidden_group_size_x
      - .offset:         38
        .size:           2
        .value_kind:     hidden_group_size_y
      - .offset:         40
        .size:           2
        .value_kind:     hidden_group_size_z
      - .offset:         42
        .size:           2
        .value_kind:     hidden_remainder_x
      - .offset:         44
        .size:           2
        .value_kind:     hidden_remainder_y
      - .offset:         46
        .size:           2
        .value_kind:     hidden_remainder_z
      - .offset:         64
        .size:           8
        .value_kind:     hidden_global_offset_x
      - .offset:         72
        .size:           8
        .value_kind:     hidden_global_offset_y
      - .offset:         80
        .size:           8
        .value_kind:     hidden_global_offset_z
      - .offset:         88
        .size:           2
        .value_kind:     hidden_grid_dims
    .group_segment_fixed_size: 0
    .kernarg_segment_align: 8
    .kernarg_segment_size: 280
    .language:       OpenCL C
    .language_version:
      - 2
      - 0
    .max_flat_workgroup_size: 1024
    .name:           _ZN4vllm17activation_kernelIN3c104HalfETnPFT_RKS3_EXadL_ZNS_15gelu_new_kernelIS2_EES3_S5_EEEEvPS3_PS4_i
    .private_segment_fixed_size: 0
    .sgpr_count:     24
    .sgpr_spill_count: 0
    .symbol:         _ZN4vllm17activation_kernelIN3c104HalfETnPFT_RKS3_EXadL_ZNS_15gelu_new_kernelIS2_EES3_S5_EEEEvPS3_PS4_i.kd
    .uniform_work_group_size: 1
    .uses_dynamic_stack: false
    .vgpr_count:     18
    .vgpr_spill_count: 0
    .wavefront_size: 64
  - .agpr_count:     0
    .args:
      - .actual_access:  write_only
        .address_space:  global
        .offset:         0
        .size:           8
        .value_kind:     global_buffer
      - .actual_access:  read_only
        .address_space:  global
        .offset:         8
        .size:           8
        .value_kind:     global_buffer
      - .offset:         16
        .size:           4
        .value_kind:     by_value
      - .offset:         24
        .size:           4
        .value_kind:     hidden_block_count_x
      - .offset:         28
        .size:           4
        .value_kind:     hidden_block_count_y
      - .offset:         32
        .size:           4
        .value_kind:     hidden_block_count_z
      - .offset:         36
        .size:           2
        .value_kind:     hidden_group_size_x
      - .offset:         38
        .size:           2
        .value_kind:     hidden_group_size_y
      - .offset:         40
        .size:           2
        .value_kind:     hidden_group_size_z
      - .offset:         42
        .size:           2
        .value_kind:     hidden_remainder_x
      - .offset:         44
        .size:           2
        .value_kind:     hidden_remainder_y
      - .offset:         46
        .size:           2
        .value_kind:     hidden_remainder_z
      - .offset:         64
        .size:           8
        .value_kind:     hidden_global_offset_x
      - .offset:         72
        .size:           8
        .value_kind:     hidden_global_offset_y
      - .offset:         80
        .size:           8
        .value_kind:     hidden_global_offset_z
      - .offset:         88
        .size:           2
        .value_kind:     hidden_grid_dims
    .group_segment_fixed_size: 0
    .kernarg_segment_align: 8
    .kernarg_segment_size: 280
    .language:       OpenCL C
    .language_version:
      - 2
      - 0
    .max_flat_workgroup_size: 1024
    .name:           _ZN4vllm17activation_kernelIN3c108BFloat16ETnPFT_RKS3_EXadL_ZNS_15gelu_new_kernelIS2_EES3_S5_EEEEvPS3_PS4_i
    .private_segment_fixed_size: 0
    .sgpr_count:     23
    .sgpr_spill_count: 0
    .symbol:         _ZN4vllm17activation_kernelIN3c108BFloat16ETnPFT_RKS3_EXadL_ZNS_15gelu_new_kernelIS2_EES3_S5_EEEEvPS3_PS4_i.kd
    .uniform_work_group_size: 1
    .uses_dynamic_stack: false
    .vgpr_count:     20
    .vgpr_spill_count: 0
    .wavefront_size: 64
  - .agpr_count:     0
    .args:
      - .actual_access:  write_only
        .address_space:  global
        .offset:         0
        .size:           8
        .value_kind:     global_buffer
      - .actual_access:  read_only
        .address_space:  global
        .offset:         8
        .size:           8
        .value_kind:     global_buffer
      - .offset:         16
        .size:           4
        .value_kind:     by_value
      - .offset:         24
        .size:           4
        .value_kind:     hidden_block_count_x
      - .offset:         28
        .size:           4
        .value_kind:     hidden_block_count_y
      - .offset:         32
        .size:           4
        .value_kind:     hidden_block_count_z
      - .offset:         36
        .size:           2
        .value_kind:     hidden_group_size_x
      - .offset:         38
        .size:           2
        .value_kind:     hidden_group_size_y
      - .offset:         40
        .size:           2
        .value_kind:     hidden_group_size_z
      - .offset:         42
        .size:           2
        .value_kind:     hidden_remainder_x
      - .offset:         44
        .size:           2
        .value_kind:     hidden_remainder_y
      - .offset:         46
        .size:           2
        .value_kind:     hidden_remainder_z
      - .offset:         64
        .size:           8
        .value_kind:     hidden_global_offset_x
      - .offset:         72
        .size:           8
        .value_kind:     hidden_global_offset_y
      - .offset:         80
        .size:           8
        .value_kind:     hidden_global_offset_z
      - .offset:         88
        .size:           2
        .value_kind:     hidden_grid_dims
    .group_segment_fixed_size: 0
    .kernarg_segment_align: 8
    .kernarg_segment_size: 280
    .language:       OpenCL C
    .language_version:
      - 2
      - 0
    .max_flat_workgroup_size: 1024
    .name:           _ZN4vllm17activation_kernelIfTnPFT_RKS1_EXadL_ZNS_16gelu_fast_kernelIfEES1_S3_EEEEvPS1_PS2_i
    .private_segment_fixed_size: 0
    .sgpr_count:     22
    .sgpr_spill_count: 0
    .symbol:         _ZN4vllm17activation_kernelIfTnPFT_RKS1_EXadL_ZNS_16gelu_fast_kernelIfEES1_S3_EEEEvPS1_PS2_i.kd
    .uniform_work_group_size: 1
    .uses_dynamic_stack: false
    .vgpr_count:     18
    .vgpr_spill_count: 0
    .wavefront_size: 64
  - .agpr_count:     0
    .args:
      - .actual_access:  write_only
        .address_space:  global
        .offset:         0
        .size:           8
        .value_kind:     global_buffer
      - .actual_access:  read_only
        .address_space:  global
        .offset:         8
        .size:           8
        .value_kind:     global_buffer
      - .offset:         16
        .size:           4
        .value_kind:     by_value
      - .offset:         24
        .size:           4
        .value_kind:     hidden_block_count_x
      - .offset:         28
        .size:           4
        .value_kind:     hidden_block_count_y
      - .offset:         32
        .size:           4
        .value_kind:     hidden_block_count_z
      - .offset:         36
        .size:           2
        .value_kind:     hidden_group_size_x
      - .offset:         38
        .size:           2
        .value_kind:     hidden_group_size_y
      - .offset:         40
        .size:           2
        .value_kind:     hidden_group_size_z
      - .offset:         42
        .size:           2
        .value_kind:     hidden_remainder_x
      - .offset:         44
        .size:           2
        .value_kind:     hidden_remainder_y
      - .offset:         46
        .size:           2
        .value_kind:     hidden_remainder_z
      - .offset:         64
        .size:           8
        .value_kind:     hidden_global_offset_x
      - .offset:         72
        .size:           8
        .value_kind:     hidden_global_offset_y
      - .offset:         80
        .size:           8
        .value_kind:     hidden_global_offset_z
      - .offset:         88
        .size:           2
        .value_kind:     hidden_grid_dims
    .group_segment_fixed_size: 0
    .kernarg_segment_align: 8
    .kernarg_segment_size: 280
    .language:       OpenCL C
    .language_version:
      - 2
      - 0
    .max_flat_workgroup_size: 1024
    .name:           _ZN4vllm17activation_kernelIN3c104HalfETnPFT_RKS3_EXadL_ZNS_16gelu_fast_kernelIS2_EES3_S5_EEEEvPS3_PS4_i
    .private_segment_fixed_size: 0
    .sgpr_count:     24
    .sgpr_spill_count: 0
    .symbol:         _ZN4vllm17activation_kernelIN3c104HalfETnPFT_RKS3_EXadL_ZNS_16gelu_fast_kernelIS2_EES3_S5_EEEEvPS3_PS4_i.kd
    .uniform_work_group_size: 1
    .uses_dynamic_stack: false
    .vgpr_count:     18
    .vgpr_spill_count: 0
    .wavefront_size: 64
  - .agpr_count:     0
    .args:
      - .actual_access:  write_only
        .address_space:  global
        .offset:         0
        .size:           8
        .value_kind:     global_buffer
      - .actual_access:  read_only
        .address_space:  global
        .offset:         8
        .size:           8
        .value_kind:     global_buffer
      - .offset:         16
        .size:           4
        .value_kind:     by_value
      - .offset:         24
        .size:           4
        .value_kind:     hidden_block_count_x
      - .offset:         28
        .size:           4
        .value_kind:     hidden_block_count_y
      - .offset:         32
        .size:           4
        .value_kind:     hidden_block_count_z
      - .offset:         36
        .size:           2
        .value_kind:     hidden_group_size_x
      - .offset:         38
        .size:           2
        .value_kind:     hidden_group_size_y
      - .offset:         40
        .size:           2
        .value_kind:     hidden_group_size_z
      - .offset:         42
        .size:           2
        .value_kind:     hidden_remainder_x
      - .offset:         44
        .size:           2
        .value_kind:     hidden_remainder_y
      - .offset:         46
        .size:           2
        .value_kind:     hidden_remainder_z
      - .offset:         64
        .size:           8
        .value_kind:     hidden_global_offset_x
      - .offset:         72
        .size:           8
        .value_kind:     hidden_global_offset_y
      - .offset:         80
        .size:           8
        .value_kind:     hidden_global_offset_z
      - .offset:         88
        .size:           2
        .value_kind:     hidden_grid_dims
    .group_segment_fixed_size: 0
    .kernarg_segment_align: 8
    .kernarg_segment_size: 280
    .language:       OpenCL C
    .language_version:
      - 2
      - 0
    .max_flat_workgroup_size: 1024
    .name:           _ZN4vllm17activation_kernelIN3c108BFloat16ETnPFT_RKS3_EXadL_ZNS_16gelu_fast_kernelIS2_EES3_S5_EEEEvPS3_PS4_i
    .private_segment_fixed_size: 0
    .sgpr_count:     23
    .sgpr_spill_count: 0
    .symbol:         _ZN4vllm17activation_kernelIN3c108BFloat16ETnPFT_RKS3_EXadL_ZNS_16gelu_fast_kernelIS2_EES3_S5_EEEEvPS3_PS4_i.kd
    .uniform_work_group_size: 1
    .uses_dynamic_stack: false
    .vgpr_count:     20
    .vgpr_spill_count: 0
    .wavefront_size: 64
  - .agpr_count:     0
    .args:
      - .actual_access:  write_only
        .address_space:  global
        .offset:         0
        .size:           8
        .value_kind:     global_buffer
      - .actual_access:  read_only
        .address_space:  global
        .offset:         8
        .size:           8
        .value_kind:     global_buffer
      - .offset:         16
        .size:           4
        .value_kind:     by_value
      - .offset:         24
        .size:           4
        .value_kind:     hidden_block_count_x
      - .offset:         28
        .size:           4
        .value_kind:     hidden_block_count_y
      - .offset:         32
        .size:           4
        .value_kind:     hidden_block_count_z
      - .offset:         36
        .size:           2
        .value_kind:     hidden_group_size_x
      - .offset:         38
        .size:           2
        .value_kind:     hidden_group_size_y
      - .offset:         40
        .size:           2
        .value_kind:     hidden_group_size_z
      - .offset:         42
        .size:           2
        .value_kind:     hidden_remainder_x
      - .offset:         44
        .size:           2
        .value_kind:     hidden_remainder_y
      - .offset:         46
        .size:           2
        .value_kind:     hidden_remainder_z
      - .offset:         64
        .size:           8
        .value_kind:     hidden_global_offset_x
      - .offset:         72
        .size:           8
        .value_kind:     hidden_global_offset_y
      - .offset:         80
        .size:           8
        .value_kind:     hidden_global_offset_z
      - .offset:         88
        .size:           2
        .value_kind:     hidden_grid_dims
    .group_segment_fixed_size: 0
    .kernarg_segment_align: 8
    .kernarg_segment_size: 280
    .language:       OpenCL C
    .language_version:
      - 2
      - 0
    .max_flat_workgroup_size: 1024
    .name:           _ZN4vllm17activation_kernelIfTnPFT_RKS1_EXadL_ZNS_17gelu_quick_kernelIfEES1_S3_EEEEvPS1_PS2_i
    .private_segment_fixed_size: 0
    .sgpr_count:     25
    .sgpr_spill_count: 0
    .symbol:         _ZN4vllm17activation_kernelIfTnPFT_RKS1_EXadL_ZNS_17gelu_quick_kernelIfEES1_S3_EEEEvPS1_PS2_i.kd
    .uniform_work_group_size: 1
    .uses_dynamic_stack: false
    .vgpr_count:     30
    .vgpr_spill_count: 0
    .wavefront_size: 64
  - .agpr_count:     0
    .args:
      - .actual_access:  write_only
        .address_space:  global
        .offset:         0
        .size:           8
        .value_kind:     global_buffer
      - .actual_access:  read_only
        .address_space:  global
        .offset:         8
        .size:           8
        .value_kind:     global_buffer
      - .offset:         16
        .size:           4
        .value_kind:     by_value
      - .offset:         24
        .size:           4
        .value_kind:     hidden_block_count_x
      - .offset:         28
        .size:           4
        .value_kind:     hidden_block_count_y
      - .offset:         32
        .size:           4
        .value_kind:     hidden_block_count_z
      - .offset:         36
        .size:           2
        .value_kind:     hidden_group_size_x
      - .offset:         38
        .size:           2
        .value_kind:     hidden_group_size_y
      - .offset:         40
        .size:           2
        .value_kind:     hidden_group_size_z
      - .offset:         42
        .size:           2
        .value_kind:     hidden_remainder_x
      - .offset:         44
        .size:           2
        .value_kind:     hidden_remainder_y
      - .offset:         46
        .size:           2
        .value_kind:     hidden_remainder_z
      - .offset:         64
        .size:           8
        .value_kind:     hidden_global_offset_x
      - .offset:         72
        .size:           8
        .value_kind:     hidden_global_offset_y
      - .offset:         80
        .size:           8
        .value_kind:     hidden_global_offset_z
      - .offset:         88
        .size:           2
        .value_kind:     hidden_grid_dims
    .group_segment_fixed_size: 0
    .kernarg_segment_align: 8
    .kernarg_segment_size: 280
    .language:       OpenCL C
    .language_version:
      - 2
      - 0
    .max_flat_workgroup_size: 1024
    .name:           _ZN4vllm17activation_kernelIN3c104HalfETnPFT_RKS3_EXadL_ZNS_17gelu_quick_kernelIS2_EES3_S5_EEEEvPS3_PS4_i
    .private_segment_fixed_size: 0
    .sgpr_count:     29
    .sgpr_spill_count: 0
    .symbol:         _ZN4vllm17activation_kernelIN3c104HalfETnPFT_RKS3_EXadL_ZNS_17gelu_quick_kernelIS2_EES3_S5_EEEEvPS3_PS4_i.kd
    .uniform_work_group_size: 1
    .uses_dynamic_stack: false
    .vgpr_count:     44
    .vgpr_spill_count: 0
    .wavefront_size: 64
  - .agpr_count:     0
    .args:
      - .actual_access:  write_only
        .address_space:  global
        .offset:         0
        .size:           8
        .value_kind:     global_buffer
      - .actual_access:  read_only
        .address_space:  global
        .offset:         8
        .size:           8
        .value_kind:     global_buffer
      - .offset:         16
        .size:           4
        .value_kind:     by_value
      - .offset:         24
        .size:           4
        .value_kind:     hidden_block_count_x
      - .offset:         28
        .size:           4
        .value_kind:     hidden_block_count_y
      - .offset:         32
        .size:           4
        .value_kind:     hidden_block_count_z
      - .offset:         36
        .size:           2
        .value_kind:     hidden_group_size_x
      - .offset:         38
        .size:           2
        .value_kind:     hidden_group_size_y
      - .offset:         40
        .size:           2
        .value_kind:     hidden_group_size_z
      - .offset:         42
        .size:           2
        .value_kind:     hidden_remainder_x
      - .offset:         44
        .size:           2
        .value_kind:     hidden_remainder_y
      - .offset:         46
        .size:           2
        .value_kind:     hidden_remainder_z
      - .offset:         64
        .size:           8
        .value_kind:     hidden_global_offset_x
      - .offset:         72
        .size:           8
        .value_kind:     hidden_global_offset_y
      - .offset:         80
        .size:           8
        .value_kind:     hidden_global_offset_z
      - .offset:         88
        .size:           2
        .value_kind:     hidden_grid_dims
    .group_segment_fixed_size: 0
    .kernarg_segment_align: 8
    .kernarg_segment_size: 280
    .language:       OpenCL C
    .language_version:
      - 2
      - 0
    .max_flat_workgroup_size: 1024
    .name:           _ZN4vllm17activation_kernelIN3c108BFloat16ETnPFT_RKS3_EXadL_ZNS_17gelu_quick_kernelIS2_EES3_S5_EEEEvPS3_PS4_i
    .private_segment_fixed_size: 0
    .sgpr_count:     31
    .sgpr_spill_count: 0
    .symbol:         _ZN4vllm17activation_kernelIN3c108BFloat16ETnPFT_RKS3_EXadL_ZNS_17gelu_quick_kernelIS2_EES3_S5_EEEEvPS3_PS4_i.kd
    .uniform_work_group_size: 1
    .uses_dynamic_stack: false
    .vgpr_count:     45
    .vgpr_spill_count: 0
    .wavefront_size: 64
amdhsa.target:   amdgcn-amd-amdhsa--gfx90a
amdhsa.version:
  - 1
  - 2
...

	.end_amdgpu_metadata
